;; amdgpu-corpus repo=zjin-lcf/HeCBench kind=compiled arch=gfx1030 opt=O3
	.amdgcn_target "amdgcn-amd-amdhsa--gfx1030"
	.amdhsa_code_object_version 6
	.text
	.protected	_Z20kernelUpdateParticlePfS_PKfS1_iff ; -- Begin function _Z20kernelUpdateParticlePfS_PKfS1_iff
	.globl	_Z20kernelUpdateParticlePfS_PKfS1_iff
	.p2align	8
	.type	_Z20kernelUpdateParticlePfS_PKfS1_iff,@function
_Z20kernelUpdateParticlePfS_PKfS1_iff:  ; @_Z20kernelUpdateParticlePfS_PKfS1_iff
; %bb.0:
	s_clause 0x1
	s_load_dword s7, s[4:5], 0x3c
	s_load_dwordx4 s[0:3], s[4:5], 0x20
	s_waitcnt lgkmcnt(0)
	s_and_b32 s3, s7, 0xffff
	s_mul_i32 s0, s0, 30
	v_mad_u64_u32 v[0:1], null, s6, s3, v[0:1]
	v_cmp_gt_i32_e32 vcc_lo, s0, v0
	s_and_saveexec_b32 s0, vcc_lo
	s_cbranch_execz .LBB0_2
; %bb.1:
	v_mul_hi_i32 v1, 0x88888889, v0
	s_load_dwordx8 s[4:11], s[4:5], 0x0
	v_add_nc_u32_e32 v1, v1, v0
	v_lshrrev_b32_e32 v2, 31, v1
	v_ashrrev_i32_e32 v3, 4, v1
	v_ashrrev_i32_e32 v1, 31, v0
	v_add_nc_u32_e32 v3, v3, v2
	v_lshlrev_b64 v[1:2], 2, v[0:1]
	v_mul_lo_u32 v5, v3, 30
	s_waitcnt lgkmcnt(0)
	v_add_co_u32 v3, vcc_lo, s8, v1
	v_add_co_ci_u32_e64 v4, null, s9, v2, vcc_lo
	v_add_co_u32 v7, vcc_lo, s4, v1
	v_sub_nc_u32_e32 v5, v0, v5
	v_add_co_ci_u32_e64 v8, null, s5, v2, vcc_lo
	global_load_dword v9, v[3:4], off
	global_load_dword v10, v[7:8], off
	v_ashrrev_i32_e32 v6, 31, v5
	v_add_co_u32 v0, vcc_lo, s6, v1
	v_add_co_ci_u32_e64 v1, null, s7, v2, vcc_lo
	v_lshlrev_b64 v[3:4], 2, v[5:6]
	v_add_co_u32 v2, vcc_lo, s10, v3
	v_add_co_ci_u32_e64 v3, null, s11, v4, vcc_lo
	global_load_dword v4, v[0:1], off
	global_load_dword v2, v[2:3], off
	v_mul_f32_e64 v3, 0x3fc00000, s1
	s_waitcnt vmcnt(2)
	v_sub_f32_e32 v5, v9, v10
	v_mul_f32_e32 v3, v3, v5
	s_waitcnt vmcnt(1)
	v_fmac_f32_e32 v3, 0.5, v4
	v_mul_f32_e64 v4, 0x3fc00000, s2
	s_waitcnt vmcnt(0)
	v_sub_f32_e32 v2, v2, v10
	v_fmac_f32_e32 v3, v4, v2
	v_add_f32_e32 v2, v10, v3
	global_store_dword v[0:1], v3, off
	global_store_dword v[7:8], v2, off
.LBB0_2:
	s_endpgm
	.section	.rodata,"a",@progbits
	.p2align	6, 0x0
	.amdhsa_kernel _Z20kernelUpdateParticlePfS_PKfS1_iff
		.amdhsa_group_segment_fixed_size 0
		.amdhsa_private_segment_fixed_size 0
		.amdhsa_kernarg_size 304
		.amdhsa_user_sgpr_count 6
		.amdhsa_user_sgpr_private_segment_buffer 1
		.amdhsa_user_sgpr_dispatch_ptr 0
		.amdhsa_user_sgpr_queue_ptr 0
		.amdhsa_user_sgpr_kernarg_segment_ptr 1
		.amdhsa_user_sgpr_dispatch_id 0
		.amdhsa_user_sgpr_flat_scratch_init 0
		.amdhsa_user_sgpr_private_segment_size 0
		.amdhsa_wavefront_size32 1
		.amdhsa_uses_dynamic_stack 0
		.amdhsa_system_sgpr_private_segment_wavefront_offset 0
		.amdhsa_system_sgpr_workgroup_id_x 1
		.amdhsa_system_sgpr_workgroup_id_y 0
		.amdhsa_system_sgpr_workgroup_id_z 0
		.amdhsa_system_sgpr_workgroup_info 0
		.amdhsa_system_vgpr_workitem_id 0
		.amdhsa_next_free_vgpr 11
		.amdhsa_next_free_sgpr 12
		.amdhsa_reserve_vcc 1
		.amdhsa_reserve_flat_scratch 0
		.amdhsa_float_round_mode_32 0
		.amdhsa_float_round_mode_16_64 0
		.amdhsa_float_denorm_mode_32 3
		.amdhsa_float_denorm_mode_16_64 3
		.amdhsa_dx10_clamp 1
		.amdhsa_ieee_mode 1
		.amdhsa_fp16_overflow 0
		.amdhsa_workgroup_processor_mode 1
		.amdhsa_memory_ordered 1
		.amdhsa_forward_progress 1
		.amdhsa_shared_vgpr_count 0
		.amdhsa_exception_fp_ieee_invalid_op 0
		.amdhsa_exception_fp_denorm_src 0
		.amdhsa_exception_fp_ieee_div_zero 0
		.amdhsa_exception_fp_ieee_overflow 0
		.amdhsa_exception_fp_ieee_underflow 0
		.amdhsa_exception_fp_ieee_inexact 0
		.amdhsa_exception_int_div_zero 0
	.end_amdhsa_kernel
	.text
.Lfunc_end0:
	.size	_Z20kernelUpdateParticlePfS_PKfS1_iff, .Lfunc_end0-_Z20kernelUpdateParticlePfS_PKfS1_iff
                                        ; -- End function
	.set _Z20kernelUpdateParticlePfS_PKfS1_iff.num_vgpr, 11
	.set _Z20kernelUpdateParticlePfS_PKfS1_iff.num_agpr, 0
	.set _Z20kernelUpdateParticlePfS_PKfS1_iff.numbered_sgpr, 12
	.set _Z20kernelUpdateParticlePfS_PKfS1_iff.num_named_barrier, 0
	.set _Z20kernelUpdateParticlePfS_PKfS1_iff.private_seg_size, 0
	.set _Z20kernelUpdateParticlePfS_PKfS1_iff.uses_vcc, 1
	.set _Z20kernelUpdateParticlePfS_PKfS1_iff.uses_flat_scratch, 0
	.set _Z20kernelUpdateParticlePfS_PKfS1_iff.has_dyn_sized_stack, 0
	.set _Z20kernelUpdateParticlePfS_PKfS1_iff.has_recursion, 0
	.set _Z20kernelUpdateParticlePfS_PKfS1_iff.has_indirect_call, 0
	.section	.AMDGPU.csdata,"",@progbits
; Kernel info:
; codeLenInByte = 308
; TotalNumSgprs: 14
; NumVgprs: 11
; ScratchSize: 0
; MemoryBound: 0
; FloatMode: 240
; IeeeMode: 1
; LDSByteSize: 0 bytes/workgroup (compile time only)
; SGPRBlocks: 0
; VGPRBlocks: 1
; NumSGPRsForWavesPerEU: 14
; NumVGPRsForWavesPerEU: 11
; Occupancy: 16
; WaveLimiterHint : 0
; COMPUTE_PGM_RSRC2:SCRATCH_EN: 0
; COMPUTE_PGM_RSRC2:USER_SGPR: 6
; COMPUTE_PGM_RSRC2:TRAP_HANDLER: 0
; COMPUTE_PGM_RSRC2:TGID_X_EN: 1
; COMPUTE_PGM_RSRC2:TGID_Y_EN: 0
; COMPUTE_PGM_RSRC2:TGID_Z_EN: 0
; COMPUTE_PGM_RSRC2:TIDIG_COMP_CNT: 0
	.text
	.protected	_Z17kernelUpdatePBestPKfPfS1_i ; -- Begin function _Z17kernelUpdatePBestPKfPfS1_i
	.globl	_Z17kernelUpdatePBestPKfPfS1_i
	.p2align	8
	.type	_Z17kernelUpdatePBestPKfPfS1_i,@function
_Z17kernelUpdatePBestPKfPfS1_i:         ; @_Z17kernelUpdatePBestPKfPfS1_i
; %bb.0:
	s_clause 0x1
	s_load_dword s0, s[4:5], 0x2c
	s_load_dword s1, s[4:5], 0x18
	s_waitcnt lgkmcnt(0)
	s_and_b32 s0, s0, 0xffff
	v_mad_u64_u32 v[0:1], null, s6, s0, v[0:1]
	s_mov_b32 s0, exec_lo
	v_cmpx_gt_i32_e64 s1, v0
	s_cbranch_execz .LBB1_213
; %bb.1:
	s_load_dwordx4 s[0:3], s[4:5], 0x0
	v_mul_lo_u32 v0, v0, 30
	v_mov_b32_e32 v62, 1.0
	v_ashrrev_i32_e32 v1, 31, v0
	v_lshlrev_b64 v[4:5], 2, v[0:1]
	s_waitcnt lgkmcnt(0)
	v_add_co_u32 v16, vcc_lo, s0, v4
	v_add_co_ci_u32_e64 v17, null, s1, v5, vcc_lo
	v_add_co_u32 v60, vcc_lo, s2, v4
	v_add_co_ci_u32_e64 v61, null, s3, v5, vcc_lo
	s_clause 0x3
	global_load_dwordx4 v[0:3], v[16:17], off
	global_load_dwordx4 v[4:7], v[16:17], off offset:16
	global_load_dwordx4 v[12:15], v[16:17], off offset:48
	;; [unrolled: 1-line block ×3, first 2 shown]
	s_clause 0x3
	global_load_dwordx4 v[42:45], v[60:61], off offset:48
	global_load_dwordx4 v[38:41], v[60:61], off offset:32
	;; [unrolled: 1-line block ×3, first 2 shown]
	global_load_dwordx4 v[30:33], v[60:61], off
	s_clause 0x3
	global_load_dwordx2 v[28:29], v[16:17], off offset:112
	global_load_dwordx4 v[24:27], v[16:17], off offset:96
	global_load_dwordx4 v[20:23], v[16:17], off offset:80
	;; [unrolled: 1-line block ×3, first 2 shown]
	s_clause 0x3
	global_load_dwordx2 v[58:59], v[60:61], off offset:112
	global_load_dwordx4 v[54:57], v[60:61], off offset:96
	global_load_dwordx4 v[50:53], v[60:61], off offset:80
	;; [unrolled: 1-line block ×3, first 2 shown]
	s_waitcnt vmcnt(15)
	v_add_f32_e32 v63, -1.0, v0
	v_fmamk_f32 v62, v63, 0x3e800000, v62
                                        ; implicit-def: $vgpr63
	v_mul_f32_e32 v64, 0x40490e56, v62
                                        ; implicit-def: $vgpr62
	v_and_b32_e32 v65, 0x7fffffff, v64
	v_cmp_ngt_f32_e64 s10, 0x48000000, |v64|
	s_and_saveexec_b32 s0, s10
	s_xor_b32 s2, exec_lo, s0
	s_cbranch_execz .LBB1_3
; %bb.2:
	s_mov_b32 s0, 0x7fffff
	v_mov_b32_e32 v67, 0
	v_and_or_b32 v74, v65, s0, 0x800000
	v_mad_u64_u32 v[62:63], null, 0xfe5163ab, v74, 0
	v_mov_b32_e32 v66, v63
	v_lshrrev_b32_e32 v63, 23, v65
	v_mad_u64_u32 v[68:69], null, 0x3c439041, v74, v[66:67]
	v_add_nc_u32_e32 v63, 0xffffff88, v63
	v_cmp_lt_u32_e32 vcc_lo, 63, v63
	v_mov_b32_e32 v66, v69
	v_cndmask_b32_e64 v73, 0, 0xffffffc0, vcc_lo
	v_mad_u64_u32 v[69:70], null, 0xdb629599, v74, v[66:67]
	v_add_nc_u32_e32 v63, v73, v63
	v_mov_b32_e32 v66, v70
	v_cmp_lt_u32_e64 s0, 31, v63
	v_cndmask_b32_e32 v62, v69, v62, vcc_lo
	v_mad_u64_u32 v[70:71], null, 0xf534ddc0, v74, v[66:67]
	v_cndmask_b32_e64 v75, 0, 0xffffffe0, s0
	v_add_nc_u32_e32 v63, v75, v63
	v_mov_b32_e32 v66, v71
	v_cndmask_b32_e32 v68, v70, v68, vcc_lo
	v_cmp_lt_u32_e64 s1, 31, v63
	v_mad_u64_u32 v[71:72], null, 0xfc2757d1, v74, v[66:67]
	v_cndmask_b32_e64 v62, v68, v62, s0
	v_mov_b32_e32 v66, v72
	v_mad_u64_u32 v[72:73], null, 0x4e441529, v74, v[66:67]
	v_mov_b32_e32 v66, v73
	v_cndmask_b32_e64 v73, 0, 0xffffffe0, s1
	v_mad_u64_u32 v[66:67], null, 0xa2f9836e, v74, v[66:67]
	v_cndmask_b32_e32 v74, v72, v70, vcc_lo
	v_add_nc_u32_e32 v63, v73, v63
	v_cndmask_b32_e32 v66, v66, v71, vcc_lo
	v_cndmask_b32_e32 v67, v67, v72, vcc_lo
	;; [unrolled: 1-line block ×3, first 2 shown]
	v_sub_nc_u32_e32 v72, 32, v63
	v_cmp_eq_u32_e32 vcc_lo, 0, v63
	v_cndmask_b32_e64 v70, v66, v74, s0
	v_cndmask_b32_e64 v66, v67, v66, s0
	;; [unrolled: 1-line block ×8, first 2 shown]
	v_alignbit_b32 v73, v66, v70, v72
	v_alignbit_b32 v69, v70, v67, v72
	;; [unrolled: 1-line block ×3, first 2 shown]
	v_cndmask_b32_e32 v63, v73, v66, vcc_lo
	v_cndmask_b32_e32 v66, v69, v70, vcc_lo
	;; [unrolled: 1-line block ×3, first 2 shown]
	v_bfe_u32 v68, v63, 29, 1
	v_alignbit_b32 v69, v63, v66, 30
	v_alignbit_b32 v66, v66, v67, 30
	;; [unrolled: 1-line block ×3, first 2 shown]
	v_sub_nc_u32_e32 v70, 0, v68
	v_xor_b32_e32 v69, v69, v70
	v_xor_b32_e32 v66, v66, v70
	;; [unrolled: 1-line block ×3, first 2 shown]
	v_lshrrev_b32_e32 v70, 29, v63
	v_lshrrev_b32_e32 v63, 30, v63
	v_ffbh_u32_e32 v71, v69
	v_add_nc_u32_e32 v63, v68, v63
	v_min_u32_e32 v71, 32, v71
	v_sub_nc_u32_e32 v67, 31, v71
	v_lshlrev_b32_e32 v72, 23, v71
	v_alignbit_b32 v69, v69, v66, v67
	v_alignbit_b32 v62, v66, v62, v67
	v_lshlrev_b32_e32 v66, 31, v70
	v_alignbit_b32 v67, v69, v62, 9
	v_or_b32_e32 v70, 0.5, v66
	v_lshrrev_b32_e32 v69, 9, v69
	v_or_b32_e32 v66, 0x33000000, v66
	v_ffbh_u32_e32 v73, v67
	v_sub_nc_u32_e32 v70, v70, v72
	v_min_u32_e32 v72, 32, v73
	v_or_b32_e32 v69, v69, v70
	v_not_b32_e32 v70, v72
	v_mul_f32_e32 v73, 0x3fc90fda, v69
	v_add_lshl_u32 v71, v72, v71, 23
	v_alignbit_b32 v62, v67, v62, v70
	v_fma_f32 v67, 0x3fc90fda, v69, -v73
	v_sub_nc_u32_e32 v66, v66, v71
	v_lshrrev_b32_e32 v62, 9, v62
	v_fmamk_f32 v67, v69, 0x33a22168, v67
	v_or_b32_e32 v62, v66, v62
	v_fmac_f32_e32 v67, 0x3fc90fda, v62
	v_add_f32_e32 v62, v73, v67
.LBB1_3:
	s_or_saveexec_b32 s0, s2
	s_load_dwordx2 s[6:7], s[4:5], 0x10
	s_xor_b32 exec_lo, exec_lo, s0
; %bb.4:
	v_mul_f32_e64 v62, 0x3f22f983, |v64|
	v_rndne_f32_e32 v63, v62
	v_fma_f32 v62, 0xbfc90fda, v63, |v64|
	v_fmamk_f32 v62, v63, 0xb3a22168, v62
	v_fmamk_f32 v62, v63, 0xa7c234c4, v62
	v_cvt_i32_f32_e32 v63, v63
; %bb.5:
	s_or_b32 exec_lo, exec_lo, s0
	v_mul_f32_e32 v66, v62, v62
	s_mov_b32 s11, 0xb94c1982
	s_mov_b32 s12, 0x37d75334
	v_lshlrev_b32_e32 v69, 30, v63
	v_and_b32_e32 v63, 1, v63
	v_fmaak_f32 v67, s11, v66, 0x3c0881c4
	v_fmaak_f32 v68, s12, v66, 0xbab64f3b
	s_waitcnt vmcnt(7)
	v_add_f32_e32 v70, -1.0, v29
	v_and_b32_e32 v69, 0x80000000, v69
	v_cmp_eq_u32_e32 vcc_lo, 0, v63
	v_fmaak_f32 v67, v66, v67, 0xbe2aaa9d
	v_fmaak_f32 v68, v66, v68, 0x3d2aabf7
	s_mov_b32 s13, 0x3e76c4e1
	s_mov_b32 s14, 0x7fffff
	v_mul_f32_e32 v67, v66, v67
	v_fmaak_f32 v68, v66, v68, 0xbf000004
	v_fmac_f32_e32 v62, v62, v67
	v_fma_f32 v66, v66, v68, 1.0
	v_fma_f32 v67, 0x3e800000, v70, 1.0
	v_xor_b32_e32 v68, v65, v69
	v_cndmask_b32_e32 v63, v66, v62, vcc_lo
	v_add_f32_e32 v62, -1.0, v67
	v_cmp_class_f32_e64 vcc_lo, v64, 0x1f8
	v_xor3_b32 v63, v68, v63, v64
	v_frexp_mant_f32_e64 v66, |v62|
	v_cmp_class_f32_e64 s8, v62, 0x204
	v_cndmask_b32_e32 v63, 0x7fc00000, v63, vcc_lo
	v_cmp_gt_f32_e64 s0, 0x3f2aaaab, v66
	v_frexp_mant_f32_e64 v68, |v63|
	v_cndmask_b32_e64 v67, 1.0, 2.0, s0
	v_cmp_gt_f32_e64 s1, 0x3f2aaaab, v68
	v_mul_f32_e32 v66, v66, v67
	v_cndmask_b32_e64 v67, 1.0, 2.0, s1
	v_add_f32_e32 v69, 1.0, v66
	v_add_f32_e32 v71, -1.0, v66
	v_mul_f32_e32 v67, v68, v67
	v_rcp_f32_e32 v68, v69
	v_add_f32_e32 v75, -1.0, v69
	v_add_f32_e32 v70, 1.0, v67
	v_add_f32_e32 v74, -1.0, v67
	v_sub_f32_e32 v66, v66, v75
	v_rcp_f32_e32 v72, v70
	v_mul_f32_e32 v73, v71, v68
	v_add_f32_e32 v75, -1.0, v70
	v_mul_f32_e32 v76, v69, v73
	v_mul_f32_e32 v77, v74, v72
	v_fma_f32 v69, v73, v69, -v76
	v_mul_f32_e32 v78, v70, v77
	v_fmac_f32_e32 v69, v73, v66
	v_sub_f32_e32 v66, v67, v75
	v_fma_f32 v67, v77, v70, -v78
	v_add_f32_e32 v70, v76, v69
	v_fmac_f32_e32 v67, v77, v66
	v_sub_f32_e32 v66, v71, v70
	v_sub_f32_e32 v76, v70, v76
	v_add_f32_e32 v75, v78, v67
	v_sub_f32_e32 v71, v71, v66
	v_sub_f32_e32 v69, v76, v69
	v_sub_f32_e32 v79, v74, v75
	v_sub_f32_e32 v70, v71, v70
	v_sub_f32_e32 v71, v75, v78
	v_sub_f32_e32 v74, v74, v79
	v_add_f32_e32 v69, v69, v70
	v_sub_f32_e32 v67, v71, v67
	v_sub_f32_e32 v70, v74, v75
	v_add_f32_e32 v66, v66, v69
	v_add_f32_e32 v67, v67, v70
	v_mul_f32_e32 v66, v68, v66
	v_add_f32_e32 v67, v79, v67
	v_add_f32_e32 v70, v73, v66
	v_mul_f32_e32 v67, v72, v67
	v_sub_f32_e32 v68, v70, v73
	v_mul_f32_e32 v69, v70, v70
	v_add_f32_e32 v71, v77, v67
	v_sub_f32_e32 v72, v66, v68
	v_fma_f32 v73, v70, v70, -v69
	v_sub_f32_e32 v66, v71, v77
	v_add_f32_e32 v68, v72, v72
	v_mul_f32_e32 v74, v71, v71
	v_sub_f32_e32 v75, v67, v66
	v_fmac_f32_e32 v73, v70, v68
	v_fma_f32 v76, v71, v71, -v74
	v_add_f32_e32 v66, v75, v75
	v_add_f32_e32 v77, v69, v73
	v_fmac_f32_e32 v76, v71, v66
	v_fmaak_f32 v66, s13, v77, 0x3e91f4c4
	v_sub_f32_e32 v81, v77, v69
	v_cvt_f64_f32_e64 v[68:69], |v63|
	v_add_f32_e32 v78, v74, v76
	v_fmaak_f32 v79, v77, v66, 0x3ecccdef
	v_cvt_f64_f32_e64 v[66:67], |v62|
	v_sub_f32_e32 v73, v73, v81
	v_fmaak_f32 v80, s13, v78, 0x3e91f4c4
	v_mul_f32_e32 v82, v77, v79
	v_sub_f32_e32 v74, v78, v74
	v_fmaak_f32 v80, v78, v80, 0x3ecccdef
	v_fma_f32 v81, v77, v79, -v82
	v_sub_f32_e32 v74, v76, v74
	v_mul_f32_e32 v83, v78, v80
	v_fmac_f32_e32 v81, v73, v79
	v_mul_f32_e32 v79, v70, v77
	v_frexp_exp_i32_f64_e32 v68, v[68:69]
	v_fma_f32 v76, v78, v80, -v83
	v_add_f32_e32 v84, v82, v81
	v_frexp_exp_i32_f64_e32 v66, v[66:67]
	v_fma_f32 v67, v77, v70, -v79
	v_fmac_f32_e32 v76, v74, v80
	v_sub_f32_e32 v80, v84, v82
	v_add_f32_e32 v82, 0x3f2aaaaa, v84
	v_fmac_f32_e32 v67, v77, v72
	v_add_f32_e32 v85, v83, v76
	v_sub_f32_e32 v69, v81, v80
	v_add_f32_e32 v77, 0xbf2aaaaa, v82
	v_ldexp_f32 v72, v72, 1
	v_fmac_f32_e32 v67, v73, v70
	v_sub_f32_e32 v80, v85, v83
	v_add_f32_e32 v81, 0x3f2aaaaa, v85
	v_mul_f32_e32 v83, v71, v78
	v_add_f32_e32 v69, 0x31739010, v69
	v_sub_f32_e32 v77, v84, v77
	v_sub_f32_e32 v76, v76, v80
	v_add_f32_e32 v80, 0xbf2aaaaa, v81
	v_fma_f32 v84, v78, v71, -v83
	v_subrev_co_ci_u32_e64 v68, null, 0, v68, s1
	v_add_f32_e32 v69, v69, v77
	v_add_f32_e32 v73, 0x31739010, v76
	v_sub_f32_e32 v76, v85, v80
	v_fmac_f32_e32 v84, v78, v75
	v_subrev_co_ci_u32_e64 v66, null, 0, v66, s0
	v_add_f32_e32 v77, v82, v69
	v_add_f32_e32 v73, v73, v76
	v_fmac_f32_e32 v84, v74, v71
	v_add_f32_e32 v74, v79, v67
	v_cvt_f32_i32_e32 v66, v66
	v_sub_f32_e32 v76, v82, v77
	v_add_f32_e32 v78, v81, v73
	v_add_f32_e32 v80, v83, v84
	v_mul_f32_e32 v82, v74, v77
	v_sub_f32_e32 v79, v74, v79
	v_add_f32_e32 v69, v69, v76
	v_sub_f32_e32 v76, v81, v78
	v_mul_f32_e32 v81, v80, v78
	v_fma_f32 v85, v74, v77, -v82
	v_sub_f32_e32 v67, v67, v79
	v_sub_f32_e32 v79, v80, v83
	v_add_f32_e32 v73, v73, v76
	v_fma_f32 v76, v80, v78, -v81
	v_fmac_f32_e32 v85, v74, v69
	v_ldexp_f32 v71, v71, 1
	v_sub_f32_e32 v69, v84, v79
	v_cvt_f32_i32_e32 v68, v68
	v_fmac_f32_e32 v76, v80, v73
	v_fmac_f32_e32 v85, v67, v77
	v_mul_f32_e32 v67, 0x3f317218, v66
	v_ldexp_f32 v75, v75, 1
	v_mul_f32_e32 v77, 0x3f317218, v68
	v_fmac_f32_e32 v76, v69, v78
	v_ldexp_f32 v69, v70, 1
	v_add_f32_e32 v70, v82, v85
	v_fma_f32 v73, 0x3f317218, v66, -v67
	v_cmp_eq_f32_e64 s0, 1.0, v62
	v_add_f32_e32 v74, v81, v76
	v_add_f32_e32 v78, v69, v70
	v_sub_f32_e32 v79, v70, v82
	v_fmac_f32_e32 v73, 0xb102e308, v66
	v_add_f32_e32 v80, v71, v74
	v_sub_f32_e32 v81, v74, v81
	v_sub_f32_e32 v69, v78, v69
	;; [unrolled: 1-line block ×6, first 2 shown]
	v_add_f32_e32 v70, v72, v79
	v_fma_f32 v72, 0x3f317218, v68, -v77
	v_sub_f32_e32 v71, v74, v71
	v_add_f32_e32 v74, v75, v76
	v_add_f32_e32 v66, v70, v69
	v_fmac_f32_e32 v72, 0xb102e308, v68
	v_add_f32_e32 v69, v67, v73
	v_add_f32_e32 v68, v74, v71
	;; [unrolled: 1-line block ×4, first 2 shown]
	v_sub_f32_e32 v67, v69, v67
	v_add_f32_e32 v74, v80, v68
	v_add_f32_e32 v75, v69, v70
	v_sub_f32_e32 v77, v71, v77
	v_sub_f32_e32 v67, v73, v67
	v_add_f32_e32 v76, v71, v74
	v_sub_f32_e32 v73, v70, v78
	v_sub_f32_e32 v79, v75, v69
	;; [unrolled: 1-line block ×13, first 2 shown]
	v_add_f32_e32 v73, v67, v66
	v_add_f32_e32 v69, v70, v69
	v_add_f32_e32 v70, v72, v68
	v_add_f32_e32 v71, v74, v71
	v_sub_f32_e32 v74, v73, v67
	v_add_f32_e32 v69, v73, v69
	v_sub_f32_e32 v77, v70, v72
	v_add_f32_e32 v71, v70, v71
	;; [unrolled: 2-line block ×3, first 2 shown]
	v_sub_f32_e32 v66, v66, v74
	v_sub_f32_e32 v70, v70, v77
	v_add_f32_e32 v74, v76, v71
	v_sub_f32_e32 v67, v67, v73
	v_sub_f32_e32 v73, v78, v75
	;; [unrolled: 1-line block ×5, first 2 shown]
	v_add_f32_e32 v66, v66, v67
	v_sub_f32_e32 v67, v69, v73
	v_add_f32_e32 v68, v68, v70
	v_sub_f32_e32 v69, v71, v72
	v_add_f32_e32 v66, v66, v67
	v_add_f32_e32 v67, v68, v69
	v_cndmask_b32_e64 v69, 2.0, 1.0, s0
	v_add_f32_e32 v68, v78, v66
	v_cmp_eq_f32_e64 s0, 1.0, v63
	v_add_f32_e32 v70, v74, v67
	v_trunc_f32_e32 v84, v69
	v_sub_f32_e32 v72, v68, v78
	v_cndmask_b32_e64 v71, 2.0, 1.0, s0
	v_mul_f32_e32 v73, v69, v68
	v_sub_f32_e32 v74, v70, v74
	v_mul_f32_e32 v82, 0.5, v69
	v_sub_f32_e32 v66, v66, v72
	v_mul_f32_e32 v75, v71, v70
	v_fma_f32 v68, v69, v68, -v73
	v_sub_f32_e32 v67, v67, v74
	v_cmp_class_f32_e64 s0, v73, 0x204
	v_cmp_eq_f32_e64 s1, v84, v69
	v_fma_f32 v70, v71, v70, -v75
	v_fmac_f32_e32 v68, v69, v66
	v_trunc_f32_e32 v87, v82
	v_fmac_f32_e32 v70, v71, v67
	v_add_f32_e32 v66, v73, v68
	v_cmp_neq_f32_e64 s2, v87, v82
	v_mul_f32_e32 v82, 0.5, v71
	v_add_f32_e32 v67, v75, v70
	v_cndmask_b32_e64 v72, v66, v73, s0
	v_cmp_class_f32_e64 s0, v75, 0x204
	v_sub_f32_e32 v66, v66, v73
	v_trunc_f32_e32 v73, v71
	s_and_b32 s2, s1, s2
	v_cmp_neq_f32_e64 s4, 0x7f800000, |v72|
	v_cndmask_b32_e64 v74, v67, v75, s0
	v_cmp_eq_f32_e64 s0, 0x42b17218, v72
	v_sub_f32_e32 v66, v68, v66
	v_sub_f32_e32 v67, v67, v75
	v_cmp_eq_f32_e64 s3, v73, v71
	v_cndmask_b32_e64 v76, 0, 0x37000000, s0
	v_cmp_eq_f32_e64 s0, 0x42b17218, v74
	v_cndmask_b32_e64 v66, 0, v66, s4
	v_sub_f32_e32 v67, v70, v67
	v_cndmask_b32_e64 v70, 1.0, v62, s2
	v_sub_f32_e32 v78, v72, v76
	v_cndmask_b32_e64 v77, 0, 0x37000000, s0
	v_add_f32_e32 v66, v76, v66
	v_trunc_f32_e32 v72, v82
	v_cmp_eq_f32_e64 s0, 0, v62
	v_mul_f32_e32 v80, 0x3fb8aa3b, v78
	v_sub_f32_e32 v79, v74, v77
	v_cmp_ngt_f32_e64 s4, 0xc2ce8ed0, v78
	v_cndmask_b32_e64 v81, 0x7f800000, 0, s0
	v_fma_f32 v85, 0x3fb8aa3b, v78, -v80
	v_mul_f32_e32 v83, 0x3fb8aa3b, v79
	v_rndne_f32_e32 v86, v80
	s_or_b32 s0, s0, s8
	s_mov_b64 s[8:9], 1
	v_fmac_f32_e32 v85, 0x32a5705f, v78
	v_fma_f32 v88, 0x3fb8aa3b, v79, -v83
	v_rndne_f32_e32 v89, v83
	v_sub_f32_e32 v80, v80, v86
	v_fmac_f32_e32 v88, 0x32a5705f, v79
	v_sub_f32_e32 v69, v83, v89
	v_add_f32_e32 v80, v80, v85
	v_cvt_i32_f32_e32 v71, v89
	v_add_f32_e32 v69, v69, v88
	v_exp_f32_e32 v80, v80
	v_exp_f32_e32 v68, v69
	v_cvt_i32_f32_e32 v69, v86
	v_ldexp_f32 v69, v80, v69
	v_ldexp_f32 v68, v68, v71
	v_cndmask_b32_e64 v69, 0, v69, s4
	v_cmp_neq_f32_e64 s4, 0x7f800000, |v74|
	v_cndmask_b32_e64 v67, 0, v67, s4
	v_cmp_ngt_f32_e64 s4, 0xc2ce8ed0, v79
	v_add_f32_e32 v67, v77, v67
	v_cndmask_b32_e64 v68, 0, v68, s4
	v_cmp_nlt_f32_e64 s4, 0x42b17218, v78
	v_cndmask_b32_e64 v69, 0x7f800000, v69, s4
	v_cmp_nlt_f32_e64 s4, 0x42b17218, v79
	v_fma_f32 v66, v69, v66, v69
	v_cndmask_b32_e64 v68, 0x7f800000, v68, s4
	v_cmp_class_f32_e64 s5, v69, 0x204
	v_cmp_neq_f32_e64 s4, v72, v82
	v_fma_f32 v67, v68, v67, v68
	v_cndmask_b32_e64 v66, v66, v69, s5
	v_cmp_class_f32_e64 s5, v68, 0x204
	s_and_b32 s4, s3, s4
	v_cndmask_b32_e64 v69, 1.0, v63, s4
	v_bfi_b32 v66, 0x7fffffff, v66, v70
	v_cndmask_b32_e64 v67, v67, v68, s5
	v_cndmask_b32_e64 v68, 0, v62, s2
	v_cmp_eq_f32_e64 s2, 0, v63
	v_cndmask_b32_e64 v71, 0x7fc00000, v66, s1
	v_bfi_b32 v67, 0x7fffffff, v67, v69
	v_cmp_gt_f32_e64 s1, 0, v62
	v_cndmask_b32_e64 v70, 0x7f800000, 0, s2
	v_cndmask_b32_e64 v69, 0, v63, s4
	v_cmp_class_f32_e64 s4, v63, 0x204
	v_cndmask_b32_e64 v72, 0x7fc00000, v67, s3
	v_cndmask_b32_e64 v66, v66, v71, s1
	v_cmp_gt_f32_e64 s1, 0, v63
	v_bfi_b32 v68, 0x7fffffff, v81, v68
	v_bfi_b32 v69, 0x7fffffff, v70, v69
	v_cndmask_b32_e64 v67, v67, v72, s1
	v_cndmask_b32_e64 v66, v66, v68, s0
	s_or_b32 s0, s2, s4
	v_cndmask_b32_e64 v67, v67, v69, s0
	v_cmp_o_f32_e64 s0, v62, v62
	v_cndmask_b32_e64 v66, 0x7fc00000, v66, s0
	v_cmp_o_f32_e64 s0, v63, v63
	v_mov_b32_e32 v63, 0
	v_cndmask_b32_e64 v62, 0x7fc00000, v67, s0
	v_add_f32_e32 v67, v66, v62
	s_branch .LBB1_7
.LBB1_6:                                ;   in Loop: Header=BB1_7 Depth=1
	s_or_b32 exec_lo, exec_lo, s0
	v_mul_f32_e32 v71, v62, v62
	v_and_b32_e32 v74, 1, v70
	s_add_i32 m0, s8, -1
	v_lshlrev_b32_e32 v70, 30, v70
	v_movrels_b32_e32 v75, v0
	v_fmaak_f32 v72, s11, v71, 0x3c0881c4
	v_fmaak_f32 v73, s12, v71, 0xbab64f3b
	v_cmp_eq_u32_e64 s0, 0, v74
	v_xor_b32_e32 v69, v69, v68
	v_and_b32_e32 v70, 0x80000000, v70
	v_fmaak_f32 v72, v71, v72, 0xbe2aaa9d
	v_fmaak_f32 v73, v71, v73, 0x3d2aabf7
	v_mul_f32_e32 v72, v71, v72
	v_fmaak_f32 v73, v71, v73, 0xbf000004
	v_fmac_f32_e32 v62, v62, v72
	v_fma_f32 v71, v71, v73, 1.0
	v_add_f32_e32 v72, -1.0, v75
	v_cndmask_b32_e64 v62, v71, v62, s0
	v_fma_f32 v71, 0x3e800000, v72, 1.0
	v_cmp_class_f32_e64 s0, v68, 0x1f8
	v_xor3_b32 v69, v69, v70, v62
	v_add_f32_e32 v62, -1.0, v71
	v_cndmask_b32_e64 v68, 0x7fc00000, v69, s0
	v_frexp_mant_f32_e64 v69, |v62|
	v_cmp_class_f32_e64 s15, v62, 0x204
	v_frexp_mant_f32_e64 v70, |v68|
	v_cmp_gt_f32_e64 s0, 0x3f2aaaab, v69
	v_cmp_gt_f32_e64 s1, 0x3f2aaaab, v70
	v_cndmask_b32_e64 v71, 1.0, 2.0, s0
	v_cndmask_b32_e64 v72, 1.0, 2.0, s1
	v_mul_f32_e32 v69, v69, v71
	v_mul_f32_e32 v70, v70, v72
	v_add_f32_e32 v71, 1.0, v69
	v_add_f32_e32 v75, -1.0, v69
	v_add_f32_e32 v72, 1.0, v70
	v_rcp_f32_e32 v73, v71
	v_add_f32_e32 v76, -1.0, v70
	v_add_f32_e32 v79, -1.0, v71
	v_rcp_f32_e32 v74, v72
	v_add_f32_e32 v81, -1.0, v72
	v_sub_f32_e32 v69, v69, v79
	v_mul_f32_e32 v77, v75, v73
	v_sub_f32_e32 v70, v70, v81
	v_mul_f32_e32 v78, v76, v74
	v_mul_f32_e32 v80, v71, v77
	;; [unrolled: 1-line block ×3, first 2 shown]
	v_fma_f32 v71, v77, v71, -v80
	v_fma_f32 v72, v78, v72, -v82
	v_fmac_f32_e32 v71, v77, v69
	v_fmac_f32_e32 v72, v78, v70
	v_add_f32_e32 v69, v80, v71
	v_add_f32_e32 v70, v82, v72
	v_sub_f32_e32 v79, v75, v69
	v_sub_f32_e32 v80, v69, v80
	;; [unrolled: 1-line block ×10, first 2 shown]
	v_add_f32_e32 v69, v71, v69
	v_add_f32_e32 v70, v72, v70
	;; [unrolled: 1-line block ×4, first 2 shown]
	v_mul_f32_e32 v69, v73, v69
	v_mul_f32_e32 v70, v74, v70
	v_add_f32_e32 v73, v77, v69
	v_add_f32_e32 v74, v78, v70
	v_sub_f32_e32 v71, v73, v77
	v_mul_f32_e32 v75, v73, v73
	v_sub_f32_e32 v72, v74, v78
	v_sub_f32_e32 v76, v69, v71
	v_mul_f32_e32 v71, v74, v74
	v_sub_f32_e32 v77, v70, v72
	v_fma_f32 v72, v73, v73, -v75
	v_add_f32_e32 v69, v76, v76
	v_fma_f32 v78, v74, v74, -v71
	v_add_f32_e32 v70, v77, v77
	v_fmac_f32_e32 v72, v73, v69
	v_fmac_f32_e32 v78, v74, v70
	v_cvt_f64_f32_e64 v[69:70], |v62|
	v_add_f32_e32 v79, v75, v72
	v_add_f32_e32 v80, v71, v78
	v_fmaak_f32 v81, s13, v79, 0x3e91f4c4
	v_sub_f32_e32 v75, v79, v75
	v_mul_f32_e32 v87, v73, v79
	v_fmaak_f32 v82, s13, v80, 0x3e91f4c4
	v_sub_f32_e32 v71, v80, v71
	v_fmaak_f32 v81, v79, v81, 0x3ecccdef
	v_sub_f32_e32 v75, v72, v75
	;; [unrolled: 2-line block ×3, first 2 shown]
	v_mul_f32_e32 v83, v79, v81
	v_cvt_f64_f32_e64 v[71:72], |v68|
	v_mul_f32_e32 v84, v80, v82
	v_fma_f32 v85, v79, v81, -v83
	v_frexp_exp_i32_f64_e32 v69, v[69:70]
	v_fma_f32 v86, v80, v82, -v84
	v_fmac_f32_e32 v85, v75, v81
	v_fma_f32 v81, v79, v73, -v87
	v_fmac_f32_e32 v86, v78, v82
	v_add_f32_e32 v82, v83, v85
	v_fmac_f32_e32 v81, v79, v76
	v_mul_f32_e32 v79, v74, v80
	v_add_f32_e32 v70, v84, v86
	v_ldexp_f32 v76, v76, 1
	v_sub_f32_e32 v83, v82, v83
	v_add_f32_e32 v88, 0x3f2aaaaa, v82
	v_fma_f32 v90, v80, v74, -v79
	v_sub_f32_e32 v84, v70, v84
	v_add_f32_e32 v89, 0x3f2aaaaa, v70
	v_sub_f32_e32 v83, v85, v83
	v_add_f32_e32 v85, 0xbf2aaaaa, v88
	v_fmac_f32_e32 v90, v80, v77
	v_sub_f32_e32 v84, v86, v84
	v_add_f32_e32 v86, 0xbf2aaaaa, v89
	v_add_f32_e32 v80, 0x31739010, v83
	v_sub_f32_e32 v82, v82, v85
	v_frexp_exp_i32_f64_e32 v71, v[71:72]
	v_add_f32_e32 v83, 0x31739010, v84
	v_sub_f32_e32 v70, v70, v86
	v_fmac_f32_e32 v90, v78, v74
	v_add_f32_e32 v72, v80, v82
	v_fmac_f32_e32 v81, v75, v73
	v_subrev_co_ci_u32_e64 v69, null, 0, v69, s0
	v_add_f32_e32 v70, v83, v70
	v_add_f32_e32 v78, v88, v72
	;; [unrolled: 1-line block ×4, first 2 shown]
	v_cvt_f32_i32_e32 v69, v69
	v_add_f32_e32 v80, v89, v70
	v_sub_f32_e32 v84, v88, v78
	v_sub_f32_e32 v79, v82, v79
	;; [unrolled: 1-line block ×3, first 2 shown]
	v_mul_f32_e32 v87, v75, v78
	v_sub_f32_e32 v85, v89, v80
	v_mul_f32_e32 v86, v82, v80
	v_add_f32_e32 v72, v72, v84
	v_sub_f32_e32 v79, v90, v79
	v_sub_f32_e32 v81, v81, v83
	v_add_f32_e32 v70, v70, v85
	v_fma_f32 v84, v82, v80, -v86
	v_fma_f32 v85, v75, v78, -v87
	v_ldexp_f32 v73, v73, 1
	v_mul_f32_e32 v88, 0x3f317218, v69
	v_ldexp_f32 v77, v77, 1
	v_fmac_f32_e32 v84, v82, v70
	v_fmac_f32_e32 v85, v75, v72
	v_subrev_co_ci_u32_e64 v70, null, 0, v71, s1
	v_ldexp_f32 v72, v74, 1
	v_fmac_f32_e32 v84, v79, v80
	v_fmac_f32_e32 v85, v81, v78
	v_cvt_f32_i32_e32 v70, v70
	v_fma_f32 v71, 0x3f317218, v69, -v88
	v_cmp_eq_f32_e64 s0, 1.0, v68
	v_add_f32_e32 v74, v86, v84
	v_add_f32_e32 v75, v87, v85
	v_mul_f32_e32 v78, 0x3f317218, v70
	v_fmac_f32_e32 v71, 0xb102e308, v69
	v_add_f32_e32 v79, v72, v74
	v_sub_f32_e32 v80, v74, v86
	v_add_f32_e32 v81, v73, v75
	v_sub_f32_e32 v82, v75, v87
	v_fma_f32 v83, 0x3f317218, v70, -v78
	v_sub_f32_e32 v72, v79, v72
	v_sub_f32_e32 v80, v84, v80
	;; [unrolled: 1-line block ×4, first 2 shown]
	v_fmac_f32_e32 v83, 0xb102e308, v70
	v_sub_f32_e32 v72, v74, v72
	v_add_f32_e32 v74, v77, v80
	v_sub_f32_e32 v73, v75, v73
	v_add_f32_e32 v75, v76, v82
	v_add_f32_e32 v69, v74, v72
	;; [unrolled: 1-line block ×6, first 2 shown]
	v_sub_f32_e32 v76, v72, v88
	v_add_f32_e32 v75, v81, v70
	v_add_f32_e32 v77, v73, v74
	v_sub_f32_e32 v71, v71, v76
	v_add_f32_e32 v80, v72, v75
	v_sub_f32_e32 v76, v73, v78
	v_sub_f32_e32 v81, v75, v81
	;; [unrolled: 1-line block ×13, first 2 shown]
	v_add_f32_e32 v78, v76, v69
	v_sub_f32_e32 v72, v72, v81
	v_add_f32_e32 v73, v74, v73
	v_add_f32_e32 v74, v71, v70
	;; [unrolled: 1-line block ×3, first 2 shown]
	v_sub_f32_e32 v75, v78, v76
	v_add_f32_e32 v73, v78, v73
	v_sub_f32_e32 v79, v74, v71
	v_add_f32_e32 v72, v74, v72
	v_sub_f32_e32 v78, v78, v75
	v_sub_f32_e32 v69, v69, v75
	v_add_f32_e32 v81, v77, v73
	v_sub_f32_e32 v74, v74, v79
	v_add_f32_e32 v82, v80, v72
	v_sub_f32_e32 v75, v76, v78
	v_sub_f32_e32 v70, v70, v79
	;; [unrolled: 1-line block ×5, first 2 shown]
	v_add_f32_e32 v69, v69, v75
	v_sub_f32_e32 v73, v73, v76
	v_add_f32_e32 v70, v70, v71
	v_sub_f32_e32 v71, v72, v74
	v_cndmask_b32_e64 v72, 2.0, 1.0, s0
	v_cmp_eq_f32_e64 s0, 1.0, v62
	v_add_f32_e32 v69, v69, v73
	v_add_f32_e32 v70, v70, v71
	v_trunc_f32_e32 v88, v72
	v_cndmask_b32_e64 v74, 2.0, 1.0, s0
	v_add_f32_e32 v71, v81, v69
	v_mul_f32_e32 v91, 0.5, v72
	v_add_f32_e32 v73, v82, v70
	v_cmp_eq_f32_e64 s2, v88, v72
	v_mul_f32_e32 v86, 0.5, v74
	v_sub_f32_e32 v75, v71, v81
	v_mul_f32_e32 v76, v72, v71
	v_sub_f32_e32 v77, v73, v82
	v_mul_f32_e32 v78, v74, v73
	v_trunc_f32_e32 v82, v74
	v_sub_f32_e32 v69, v69, v75
	v_fma_f32 v71, v72, v71, -v76
	v_sub_f32_e32 v70, v70, v77
	v_fma_f32 v73, v74, v73, -v78
	v_cmp_class_f32_e64 s0, v76, 0x204
	v_cmp_eq_f32_e64 s1, v82, v74
	v_fmac_f32_e32 v71, v72, v69
	v_trunc_f32_e32 v72, v91
	v_fmac_f32_e32 v73, v74, v70
	v_trunc_f32_e32 v92, v86
	v_add_f32_e32 v69, v76, v71
	v_cmp_neq_f32_e64 s3, v72, v91
	v_add_f32_e32 v70, v78, v73
	v_cndmask_b32_e64 v75, v69, v76, s0
	v_cmp_class_f32_e64 s0, v78, 0x204
	v_sub_f32_e32 v69, v69, v76
	s_and_b32 s3, s2, s3
	v_cmp_neq_f32_e64 s4, 0x7f800000, |v75|
	v_cndmask_b32_e64 v77, v70, v78, s0
	v_cmp_eq_f32_e64 s0, 0x42b17218, v75
	v_sub_f32_e32 v70, v70, v78
	v_sub_f32_e32 v69, v71, v69
	v_cndmask_b32_e64 v79, 0, 0x37000000, s0
	v_cmp_eq_f32_e64 s0, 0x42b17218, v77
	v_sub_f32_e32 v70, v73, v70
	v_cndmask_b32_e64 v69, 0, v69, s4
	v_cmp_neq_f32_e64 s4, 0x7f800000, |v77|
	v_sub_f32_e32 v81, v75, v79
	v_cndmask_b32_e64 v80, 0, 0x37000000, s0
	v_cmp_eq_f32_e64 s0, 0, v62
	v_add_f32_e32 v69, v79, v69
	v_cndmask_b32_e64 v70, 0, v70, s4
	v_mul_f32_e32 v84, 0x3fb8aa3b, v81
	v_sub_f32_e32 v83, v77, v80
	v_cmp_ngt_f32_e64 s4, 0xc2ce8ed0, v81
	v_cndmask_b32_e64 v85, 0x7f800000, 0, s0
	v_add_f32_e32 v70, v80, v70
	v_fma_f32 v74, 0x3fb8aa3b, v81, -v84
	v_mul_f32_e32 v87, 0x3fb8aa3b, v83
	v_rndne_f32_e32 v82, v84
	s_or_b32 s0, s0, s15
	v_fmac_f32_e32 v74, 0x32a5705f, v81
	v_fma_f32 v89, 0x3fb8aa3b, v83, -v87
	v_rndne_f32_e32 v90, v87
	v_sub_f32_e32 v84, v84, v82
	v_cvt_i32_f32_e32 v71, v82
	v_fmac_f32_e32 v89, 0x32a5705f, v83
	v_sub_f32_e32 v87, v87, v90
	v_add_f32_e32 v74, v84, v74
	v_cvt_i32_f32_e32 v73, v90
	v_add_f32_e32 v84, v87, v89
	v_exp_f32_e32 v74, v74
	v_exp_f32_e32 v72, v84
	v_ldexp_f32 v71, v74, v71
	v_ldexp_f32 v72, v72, v73
	v_cndmask_b32_e64 v71, 0, v71, s4
	v_cmp_ngt_f32_e64 s4, 0xc2ce8ed0, v83
	v_cndmask_b32_e64 v73, 1.0, v68, s3
	v_cndmask_b32_e64 v72, 0, v72, s4
	v_cmp_nlt_f32_e64 s4, 0x42b17218, v81
	v_cndmask_b32_e64 v71, 0x7f800000, v71, s4
	v_cmp_nlt_f32_e64 s4, 0x42b17218, v83
	v_fma_f32 v69, v71, v69, v71
	v_cndmask_b32_e64 v72, 0x7f800000, v72, s4
	v_cmp_class_f32_e64 s5, v71, 0x204
	v_cmp_neq_f32_e64 s4, v92, v86
	v_fma_f32 v70, v72, v70, v72
	v_cndmask_b32_e64 v69, v69, v71, s5
	v_cmp_class_f32_e64 s5, v72, 0x204
	s_and_b32 s4, s1, s4
	v_cndmask_b32_e64 v71, 1.0, v62, s4
	v_bfi_b32 v69, 0x7fffffff, v69, v73
	v_cndmask_b32_e64 v70, v70, v72, s5
	v_cmp_eq_f32_e64 s5, 0, v68
	v_cndmask_b32_e64 v73, 0, v68, s3
	v_cndmask_b32_e64 v74, 0, v62, s4
	v_cmp_class_f32_e64 s3, v68, 0x204
	v_bfi_b32 v70, 0x7fffffff, v70, v71
	v_cndmask_b32_e64 v72, 0x7f800000, 0, s5
	v_cndmask_b32_e64 v71, 0x7fc00000, v69, s2
	v_bfi_b32 v72, 0x7fffffff, v72, v73
	v_cndmask_b32_e64 v73, 0x7fc00000, v70, s1
	v_cmp_gt_f32_e64 s1, 0, v68
	v_cndmask_b32_e64 v69, v69, v71, s1
	v_cmp_gt_f32_e64 s1, 0, v62
	v_bfi_b32 v71, 0x7fffffff, v85, v74
	v_cndmask_b32_e64 v70, v70, v73, s1
	s_or_b32 s1, s5, s3
	s_add_u32 s8, s8, 1
	v_cndmask_b32_e64 v69, v69, v72, s1
	s_addc_u32 s9, s9, 0
	v_cndmask_b32_e64 v70, v70, v71, s0
	v_cmp_o_f32_e64 s0, v62, v62
	s_cmp_lg_u32 s8, 30
	v_fma_f32 v69, 0x41200000, v69, 1.0
	v_cndmask_b32_e64 v62, 0x7fc00000, v70, s0
	v_cmp_o_f32_e64 s0, v68, v68
	v_cndmask_b32_e64 v68, 0x7fc00000, v69, s0
	v_fmac_f32_e32 v67, v62, v68
	s_cbranch_scc0 .LBB1_11
.LBB1_7:                                ; =>This Inner Loop Header: Depth=1
	s_mov_b32 m0, s8
                                        ; implicit-def: $vgpr70
	s_mov_b32 s1, exec_lo
	s_waitcnt vmcnt(4)
	v_movrels_b32_e32 v62, v0
	v_add_f32_e32 v62, -1.0, v62
	v_fma_f32 v62, 0x3e800000, v62, 1.0
	v_mul_f32_e32 v68, 0x40490e56, v62
                                        ; implicit-def: $vgpr62
	v_and_b32_e32 v69, 0x7fffffff, v68
	v_cmpx_ngt_f32_e64 0x48000000, |v68|
	s_xor_b32 s3, exec_lo, s1
	s_cbranch_execz .LBB1_9
; %bb.8:                                ;   in Loop: Header=BB1_7 Depth=1
	v_and_or_b32 v77, v69, s14, 0x800000
	v_lshrrev_b32_e32 v75, 23, v69
	v_mad_u64_u32 v[70:71], null, 0xfe5163ab, v77, 0
	v_add_nc_u32_e32 v76, 0xffffff88, v75
	v_cmp_lt_u32_e64 s0, 63, v76
	v_mov_b32_e32 v62, v71
	v_cndmask_b32_e64 v78, 0, 0xffffffc0, s0
	v_mad_u64_u32 v[71:72], null, 0x3c439041, v77, v[62:63]
	v_add_nc_u32_e32 v78, v78, v76
	v_mov_b32_e32 v62, v72
	v_cmp_lt_u32_e64 s1, 31, v78
	v_mad_u64_u32 v[72:73], null, 0xdb629599, v77, v[62:63]
	v_cndmask_b32_e64 v79, 0, 0xffffffe0, s1
	v_add_nc_u32_e32 v78, v79, v78
	v_mov_b32_e32 v62, v73
	v_cndmask_b32_e64 v70, v72, v70, s0
	v_cmp_lt_u32_e64 s2, 31, v78
	v_mad_u64_u32 v[73:74], null, 0xf534ddc0, v77, v[62:63]
	v_mov_b32_e32 v62, v74
	v_cndmask_b32_e64 v71, v73, v71, s0
	v_mad_u64_u32 v[74:75], null, 0xfc2757d1, v77, v[62:63]
	v_cndmask_b32_e64 v70, v71, v70, s1
	v_mov_b32_e32 v62, v75
	v_mad_u64_u32 v[75:76], null, 0x4e441529, v77, v[62:63]
	v_mov_b32_e32 v62, v76
	v_cndmask_b32_e64 v79, v75, v73, s0
	v_mad_u64_u32 v[76:77], null, 0xa2f9836e, v77, v[62:63]
	v_cndmask_b32_e64 v62, 0, 0xffffffe0, s2
	v_add_nc_u32_e32 v62, v62, v78
	v_cndmask_b32_e64 v76, v76, v74, s0
	v_cndmask_b32_e64 v75, v77, v75, s0
	;; [unrolled: 1-line block ×3, first 2 shown]
	v_sub_nc_u32_e32 v77, 32, v62
	v_cndmask_b32_e64 v73, v76, v79, s1
	v_cndmask_b32_e64 v75, v75, v76, s1
	;; [unrolled: 1-line block ×4, first 2 shown]
	v_cmp_eq_u32_e64 s0, 0, v62
	v_cndmask_b32_e64 v75, v75, v73, s2
	v_cndmask_b32_e64 v73, v73, v76, s2
	;; [unrolled: 1-line block ×4, first 2 shown]
	v_alignbit_b32 v78, v75, v73, v77
	v_alignbit_b32 v72, v73, v76, v77
	v_cndmask_b32_e64 v62, v78, v75, s0
	v_cndmask_b32_e64 v71, v72, v73, s0
	v_alignbit_b32 v75, v76, v70, v77
	v_bfe_u32 v72, v62, 29, 1
	v_alignbit_b32 v73, v62, v71, 30
	v_cndmask_b32_e64 v75, v75, v76, s0
	v_sub_nc_u32_e32 v74, 0, v72
	v_alignbit_b32 v71, v71, v75, 30
	v_alignbit_b32 v70, v75, v70, 30
	v_xor_b32_e32 v73, v73, v74
	v_xor_b32_e32 v71, v71, v74
	;; [unrolled: 1-line block ×3, first 2 shown]
	v_lshrrev_b32_e32 v74, 29, v62
	v_ffbh_u32_e32 v76, v73
	v_min_u32_e32 v76, 32, v76
	v_sub_nc_u32_e32 v75, 31, v76
	v_lshlrev_b32_e32 v77, 23, v76
	v_alignbit_b32 v73, v73, v71, v75
	v_alignbit_b32 v70, v71, v70, v75
	v_lshlrev_b32_e32 v71, 31, v74
	v_alignbit_b32 v74, v73, v70, 9
	v_or_b32_e32 v75, 0.5, v71
	v_lshrrev_b32_e32 v73, 9, v73
	v_or_b32_e32 v71, 0x33000000, v71
	v_ffbh_u32_e32 v78, v74
	v_sub_nc_u32_e32 v75, v75, v77
	v_min_u32_e32 v77, 32, v78
	v_or_b32_e32 v73, v73, v75
	v_not_b32_e32 v75, v77
	v_mul_f32_e32 v78, 0x3fc90fda, v73
	v_add_lshl_u32 v76, v77, v76, 23
	v_alignbit_b32 v70, v74, v70, v75
	v_fma_f32 v74, 0x3fc90fda, v73, -v78
	v_sub_nc_u32_e32 v71, v71, v76
	v_lshrrev_b32_e32 v70, 9, v70
	v_fmac_f32_e32 v74, 0x33a22168, v73
	v_or_b32_e32 v70, v71, v70
	v_fmac_f32_e32 v74, 0x3fc90fda, v70
	v_lshrrev_b32_e32 v70, 30, v62
	v_add_f32_e32 v62, v78, v74
	v_add_nc_u32_e32 v70, v72, v70
.LBB1_9:                                ;   in Loop: Header=BB1_7 Depth=1
	s_andn2_saveexec_b32 s0, s3
	s_cbranch_execz .LBB1_6
; %bb.10:                               ;   in Loop: Header=BB1_7 Depth=1
	v_mul_f32_e64 v62, 0x3f22f983, |v68|
	v_rndne_f32_e32 v70, v62
	v_fma_f32 v62, 0xbfc90fda, v70, |v68|
	v_fmac_f32_e32 v62, 0xb3a22168, v70
	v_fmac_f32_e32 v62, 0xa7c234c4, v70
	v_cvt_i32_f32_e32 v70, v70
	s_branch .LBB1_6
.LBB1_11:
	v_add_f32_e32 v62, -1.0, v30
	v_mov_b32_e32 v63, 1.0
                                        ; implicit-def: $vgpr69
                                        ; implicit-def: $vgpr68
	s_mov_b32 s1, exec_lo
	v_fmamk_f32 v62, v62, 0x3e800000, v63
	v_mul_f32_e32 v62, 0x40490e56, v62
	v_and_b32_e32 v63, 0x7fffffff, v62
	v_cmpx_ngt_f32_e64 0x48000000, |v62|
	s_xor_b32 s3, exec_lo, s1
	s_cbranch_execz .LBB1_13
; %bb.12:
	s_mov_b32 s0, 0x7fffff
	v_mov_b32_e32 v70, 0
	v_and_or_b32 v77, v63, s0, 0x800000
	v_lshrrev_b32_e32 v75, 23, v63
	v_mad_u64_u32 v[68:69], null, 0xfe5163ab, v77, 0
	v_add_nc_u32_e32 v76, 0xffffff88, v75
	v_cmp_lt_u32_e64 s0, 63, v76
	v_mad_u64_u32 v[71:72], null, 0x3c439041, v77, v[69:70]
	v_cndmask_b32_e64 v78, 0, 0xffffffc0, s0
	v_mov_b32_e32 v69, v72
	v_add_nc_u32_e32 v78, v78, v76
	v_mad_u64_u32 v[72:73], null, 0xdb629599, v77, v[69:70]
	v_cmp_lt_u32_e64 s1, 31, v78
	v_cndmask_b32_e64 v79, 0, 0xffffffe0, s1
	v_mov_b32_e32 v69, v73
	v_cndmask_b32_e64 v68, v72, v68, s0
	v_mad_u64_u32 v[73:74], null, 0xf534ddc0, v77, v[69:70]
	v_mov_b32_e32 v69, v74
	v_cndmask_b32_e64 v71, v73, v71, s0
	v_mad_u64_u32 v[74:75], null, 0xfc2757d1, v77, v[69:70]
	v_cndmask_b32_e64 v68, v71, v68, s1
	v_mov_b32_e32 v69, v75
	v_mad_u64_u32 v[75:76], null, 0x4e441529, v77, v[69:70]
	v_mov_b32_e32 v69, v76
	v_add_nc_u32_e32 v76, v79, v78
	v_cndmask_b32_e64 v78, v75, v73, s0
	v_mad_u64_u32 v[69:70], null, 0xa2f9836e, v77, v[69:70]
	v_cmp_lt_u32_e64 s2, 31, v76
	v_cndmask_b32_e64 v77, 0, 0xffffffe0, s2
	v_cndmask_b32_e64 v69, v69, v74, s0
	;; [unrolled: 1-line block ×4, first 2 shown]
	v_add_nc_u32_e32 v75, v77, v76
	v_cndmask_b32_e64 v73, v69, v78, s1
	v_cndmask_b32_e64 v69, v70, v69, s1
	;; [unrolled: 1-line block ×4, first 2 shown]
	v_sub_nc_u32_e32 v76, 32, v75
	v_cmp_eq_u32_e64 s0, 0, v75
	v_cndmask_b32_e64 v69, v69, v73, s2
	v_cndmask_b32_e64 v73, v73, v70, s2
	;; [unrolled: 1-line block ×4, first 2 shown]
	v_alignbit_b32 v77, v69, v73, v76
	v_alignbit_b32 v72, v73, v70, v76
	;; [unrolled: 1-line block ×3, first 2 shown]
	v_cndmask_b32_e64 v69, v77, v69, s0
	v_cndmask_b32_e64 v71, v72, v73, s0
	;; [unrolled: 1-line block ×3, first 2 shown]
	v_bfe_u32 v72, v69, 29, 1
	v_alignbit_b32 v73, v69, v71, 30
	v_alignbit_b32 v71, v71, v70, 30
	;; [unrolled: 1-line block ×3, first 2 shown]
	v_sub_nc_u32_e32 v74, 0, v72
	v_xor_b32_e32 v73, v73, v74
	v_xor_b32_e32 v70, v71, v74
	;; [unrolled: 1-line block ×3, first 2 shown]
	v_lshrrev_b32_e32 v74, 29, v69
	v_lshrrev_b32_e32 v69, 30, v69
	v_ffbh_u32_e32 v75, v73
	v_add_nc_u32_e32 v69, v72, v69
	v_min_u32_e32 v75, 32, v75
	v_sub_nc_u32_e32 v71, 31, v75
	v_lshlrev_b32_e32 v76, 23, v75
	v_alignbit_b32 v73, v73, v70, v71
	v_alignbit_b32 v68, v70, v68, v71
	v_lshlrev_b32_e32 v70, 31, v74
	v_alignbit_b32 v71, v73, v68, 9
	v_or_b32_e32 v74, 0.5, v70
	v_lshrrev_b32_e32 v73, 9, v73
	v_or_b32_e32 v70, 0x33000000, v70
	v_ffbh_u32_e32 v77, v71
	v_sub_nc_u32_e32 v74, v74, v76
	v_min_u32_e32 v76, 32, v77
	v_or_b32_e32 v73, v73, v74
	v_not_b32_e32 v74, v76
	v_mul_f32_e32 v77, 0x3fc90fda, v73
	v_add_lshl_u32 v75, v76, v75, 23
	v_alignbit_b32 v68, v71, v68, v74
	v_fma_f32 v71, 0x3fc90fda, v73, -v77
	v_sub_nc_u32_e32 v70, v70, v75
	v_lshrrev_b32_e32 v68, 9, v68
	v_fmamk_f32 v71, v73, 0x33a22168, v71
	v_or_b32_e32 v68, v70, v68
	v_fmac_f32_e32 v71, 0x3fc90fda, v68
	v_add_f32_e32 v68, v77, v71
.LBB1_13:
	s_andn2_saveexec_b32 s0, s3
; %bb.14:
	v_mul_f32_e64 v68, 0x3f22f983, |v62|
	v_rndne_f32_e32 v69, v68
	v_fma_f32 v68, 0xbfc90fda, v69, |v62|
	v_fmamk_f32 v68, v69, 0xb3a22168, v68
	v_fmamk_f32 v68, v69, 0xa7c234c4, v68
	v_cvt_i32_f32_e32 v69, v69
; %bb.15:
	s_or_b32 exec_lo, exec_lo, s0
	v_mul_f32_e32 v70, v68, v68
	s_mov_b32 s8, 0xb94c1982
	s_mov_b32 s9, 0x37d75334
	v_and_b32_e32 v74, 1, v69
	s_waitcnt vmcnt(3)
	v_add_f32_e32 v73, -1.0, v59
	v_fmaak_f32 v71, s8, v70, 0x3c0881c4
	v_fmaak_f32 v72, s9, v70, 0xbab64f3b
	v_lshlrev_b32_e32 v69, 30, v69
	v_cmp_eq_u32_e64 s0, 0, v74
	s_mov_b32 s11, 0x3e76c4e1
	v_fmaak_f32 v71, v70, v71, 0xbe2aaa9d
	v_fmaak_f32 v72, v70, v72, 0x3d2aabf7
	v_and_b32_e32 v69, 0x80000000, v69
	v_mul_f32_e32 v71, v70, v71
	v_fmaak_f32 v72, v70, v72, 0xbf000004
	v_fmac_f32_e32 v68, v68, v71
	v_fma_f32 v70, v70, v72, 1.0
	v_xor_b32_e32 v71, v63, v62
	v_fma_f32 v63, 0x3e800000, v73, 1.0
	v_cndmask_b32_e64 v68, v70, v68, s0
	v_cmp_class_f32_e64 s0, v62, 0x1f8
	v_add_f32_e32 v63, -1.0, v63
	v_xor3_b32 v68, v71, v69, v68
	v_frexp_mant_f32_e64 v69, |v63|
	v_cmp_class_f32_e64 s12, v63, 0x204
	v_cndmask_b32_e64 v62, 0x7fc00000, v68, s0
	v_cmp_gt_f32_e64 s0, 0x3f2aaaab, v69
	v_frexp_mant_f32_e64 v70, |v62|
	v_cndmask_b32_e64 v68, 1.0, 2.0, s0
	v_cmp_gt_f32_e64 s1, 0x3f2aaaab, v70
	v_mul_f32_e32 v68, v69, v68
	v_cndmask_b32_e64 v69, 1.0, 2.0, s1
	v_add_f32_e32 v71, 1.0, v68
	v_add_f32_e32 v73, -1.0, v68
	v_mul_f32_e32 v69, v70, v69
	v_rcp_f32_e32 v70, v71
	v_add_f32_e32 v77, -1.0, v71
	v_add_f32_e32 v72, 1.0, v69
	v_add_f32_e32 v76, -1.0, v69
	v_sub_f32_e32 v68, v68, v77
	v_rcp_f32_e32 v74, v72
	v_add_f32_e32 v77, -1.0, v72
	v_mul_f32_e32 v75, v73, v70
	v_mul_f32_e32 v78, v71, v75
	;; [unrolled: 1-line block ×3, first 2 shown]
	v_fma_f32 v71, v75, v71, -v78
	v_mul_f32_e32 v80, v72, v79
	v_fmac_f32_e32 v71, v75, v68
	v_sub_f32_e32 v68, v69, v77
	v_fma_f32 v69, v79, v72, -v80
	v_add_f32_e32 v72, v78, v71
	v_fmac_f32_e32 v69, v79, v68
	v_sub_f32_e32 v68, v73, v72
	v_sub_f32_e32 v78, v72, v78
	v_add_f32_e32 v77, v80, v69
	v_sub_f32_e32 v73, v73, v68
	v_sub_f32_e32 v71, v78, v71
	;; [unrolled: 1-line block ×6, first 2 shown]
	v_add_f32_e32 v71, v71, v72
	v_sub_f32_e32 v69, v73, v69
	v_sub_f32_e32 v72, v76, v77
	v_add_f32_e32 v68, v68, v71
	v_add_f32_e32 v69, v69, v72
	v_mul_f32_e32 v68, v70, v68
	v_add_f32_e32 v69, v81, v69
	v_add_f32_e32 v72, v75, v68
	v_mul_f32_e32 v69, v74, v69
	v_sub_f32_e32 v70, v72, v75
	v_mul_f32_e32 v71, v72, v72
	v_add_f32_e32 v73, v79, v69
	v_sub_f32_e32 v74, v68, v70
	v_fma_f32 v75, v72, v72, -v71
	v_sub_f32_e32 v68, v73, v79
	v_mul_f32_e32 v76, v73, v73
	v_add_f32_e32 v70, v74, v74
	v_sub_f32_e32 v77, v69, v68
	v_fma_f32 v78, v73, v73, -v76
	v_fmac_f32_e32 v75, v72, v70
	v_add_f32_e32 v68, v77, v77
	v_add_f32_e32 v79, v71, v75
	v_fmac_f32_e32 v78, v73, v68
	v_fmaak_f32 v68, s11, v79, 0x3e91f4c4
	v_sub_f32_e32 v83, v79, v71
	v_cvt_f64_f32_e64 v[70:71], |v62|
	v_add_f32_e32 v80, v76, v78
	v_fmaak_f32 v81, v79, v68, 0x3ecccdef
	v_cvt_f64_f32_e64 v[68:69], |v63|
	v_sub_f32_e32 v75, v75, v83
	v_fmaak_f32 v82, s11, v80, 0x3e91f4c4
	v_sub_f32_e32 v76, v80, v76
	v_mul_f32_e32 v84, v79, v81
	v_fmaak_f32 v82, v80, v82, 0x3ecccdef
	v_sub_f32_e32 v76, v78, v76
	v_fma_f32 v83, v79, v81, -v84
	v_mul_f32_e32 v85, v80, v82
	v_fmac_f32_e32 v83, v75, v81
	v_mul_f32_e32 v81, v72, v79
	v_fma_f32 v78, v80, v82, -v85
	v_frexp_exp_i32_f64_e32 v70, v[70:71]
	v_add_f32_e32 v86, v84, v83
	v_frexp_exp_i32_f64_e32 v68, v[68:69]
	v_fmac_f32_e32 v78, v76, v82
	v_fma_f32 v69, v79, v72, -v81
	v_sub_f32_e32 v82, v86, v84
	v_add_f32_e32 v84, 0x3f2aaaaa, v86
	v_add_f32_e32 v87, v85, v78
	v_fmac_f32_e32 v69, v79, v74
	v_sub_f32_e32 v71, v83, v82
	v_add_f32_e32 v79, 0xbf2aaaaa, v84
	v_ldexp_f32 v74, v74, 1
	v_sub_f32_e32 v82, v87, v85
	v_add_f32_e32 v83, 0x3f2aaaaa, v87
	v_mul_f32_e32 v85, v73, v80
	v_add_f32_e32 v71, 0x31739010, v71
	v_sub_f32_e32 v79, v86, v79
	v_sub_f32_e32 v78, v78, v82
	v_add_f32_e32 v82, 0xbf2aaaaa, v83
	v_fma_f32 v86, v80, v73, -v85
	v_fmac_f32_e32 v69, v75, v72
	v_add_f32_e32 v71, v71, v79
	v_add_f32_e32 v75, 0x31739010, v78
	v_sub_f32_e32 v78, v87, v82
	v_fmac_f32_e32 v86, v80, v77
	v_subrev_co_ci_u32_e64 v68, null, 0, v68, s0
	v_add_f32_e32 v79, v84, v71
	v_add_f32_e32 v75, v75, v78
	v_fmac_f32_e32 v86, v76, v73
	v_add_f32_e32 v76, v81, v69
	v_cvt_f32_i32_e32 v68, v68
	v_sub_f32_e32 v78, v84, v79
	v_add_f32_e32 v80, v83, v75
	v_add_f32_e32 v82, v85, v86
	v_mul_f32_e32 v84, v76, v79
	v_sub_f32_e32 v81, v76, v81
	v_add_f32_e32 v71, v71, v78
	v_sub_f32_e32 v78, v83, v80
	v_mul_f32_e32 v83, v82, v80
	v_fma_f32 v87, v76, v79, -v84
	v_sub_f32_e32 v69, v69, v81
	v_sub_f32_e32 v81, v82, v85
	v_add_f32_e32 v75, v75, v78
	v_fma_f32 v78, v82, v80, -v83
	v_fmac_f32_e32 v87, v76, v71
	v_subrev_co_ci_u32_e64 v70, null, 0, v70, s1
	v_sub_f32_e32 v71, v86, v81
	v_fmac_f32_e32 v78, v82, v75
	v_fmac_f32_e32 v87, v69, v79
	v_ldexp_f32 v73, v73, 1
	v_mul_f32_e32 v69, 0x3f317218, v68
	v_cvt_f32_i32_e32 v70, v70
	v_fmac_f32_e32 v78, v71, v80
	v_ldexp_f32 v71, v72, 1
	v_add_f32_e32 v72, v84, v87
	v_fma_f32 v75, 0x3f317218, v68, -v69
	v_mul_f32_e32 v79, 0x3f317218, v70
	v_add_f32_e32 v76, v83, v78
	v_ldexp_f32 v77, v77, 1
	v_add_f32_e32 v80, v71, v72
	v_sub_f32_e32 v81, v72, v84
	v_fmac_f32_e32 v75, 0xb102e308, v68
	v_add_f32_e32 v82, v73, v76
	v_sub_f32_e32 v83, v76, v83
	v_sub_f32_e32 v71, v80, v71
	;; [unrolled: 1-line block ×3, first 2 shown]
	v_cmp_eq_f32_e64 s0, 1.0, v63
	v_sub_f32_e32 v73, v82, v73
	v_sub_f32_e32 v78, v78, v83
	;; [unrolled: 1-line block ×3, first 2 shown]
	v_add_f32_e32 v72, v74, v81
	v_fma_f32 v74, 0x3f317218, v70, -v79
	v_sub_f32_e32 v73, v76, v73
	v_add_f32_e32 v76, v77, v78
	v_add_f32_e32 v68, v72, v71
	v_fmac_f32_e32 v74, 0xb102e308, v70
	v_add_f32_e32 v71, v69, v75
	v_add_f32_e32 v70, v76, v73
	;; [unrolled: 1-line block ×4, first 2 shown]
	v_sub_f32_e32 v69, v71, v69
	v_add_f32_e32 v76, v82, v70
	v_add_f32_e32 v77, v71, v72
	v_sub_f32_e32 v79, v73, v79
	v_sub_f32_e32 v69, v75, v69
	v_add_f32_e32 v78, v73, v76
	v_sub_f32_e32 v75, v72, v80
	v_sub_f32_e32 v81, v77, v71
	;; [unrolled: 1-line block ×13, first 2 shown]
	v_add_f32_e32 v75, v69, v68
	v_add_f32_e32 v71, v72, v71
	v_add_f32_e32 v72, v74, v70
	v_add_f32_e32 v73, v76, v73
	v_sub_f32_e32 v76, v75, v69
	v_add_f32_e32 v71, v75, v71
	v_sub_f32_e32 v79, v72, v74
	v_add_f32_e32 v73, v72, v73
	;; [unrolled: 2-line block ×3, first 2 shown]
	v_sub_f32_e32 v68, v68, v76
	v_sub_f32_e32 v72, v72, v79
	v_add_f32_e32 v76, v78, v73
	v_sub_f32_e32 v69, v69, v75
	v_sub_f32_e32 v75, v80, v77
	;; [unrolled: 1-line block ×5, first 2 shown]
	v_add_f32_e32 v68, v68, v69
	v_sub_f32_e32 v69, v71, v75
	v_add_f32_e32 v70, v70, v72
	v_sub_f32_e32 v71, v73, v74
	v_add_f32_e32 v68, v68, v69
	v_add_f32_e32 v69, v70, v71
	v_cndmask_b32_e64 v71, 2.0, 1.0, s0
	v_add_f32_e32 v70, v80, v68
	v_cmp_eq_f32_e64 s0, 1.0, v62
	v_add_f32_e32 v72, v76, v69
	v_trunc_f32_e32 v86, v71
	v_sub_f32_e32 v74, v70, v80
	v_cndmask_b32_e64 v73, 2.0, 1.0, s0
	v_mul_f32_e32 v75, v71, v70
	v_sub_f32_e32 v76, v72, v76
	v_mul_f32_e32 v84, 0.5, v71
	v_sub_f32_e32 v68, v68, v74
	v_mul_f32_e32 v77, v73, v72
	v_fma_f32 v70, v71, v70, -v75
	v_sub_f32_e32 v69, v69, v76
	v_cmp_class_f32_e64 s0, v75, 0x204
	v_cmp_eq_f32_e64 s1, v86, v71
	v_fma_f32 v72, v73, v72, -v77
	v_fmac_f32_e32 v70, v71, v68
	v_trunc_f32_e32 v89, v84
	v_fmac_f32_e32 v72, v73, v69
	v_add_f32_e32 v68, v75, v70
	v_cmp_neq_f32_e64 s2, v89, v84
	v_mul_f32_e32 v84, 0.5, v73
	v_add_f32_e32 v69, v77, v72
	v_cndmask_b32_e64 v74, v68, v75, s0
	v_cmp_class_f32_e64 s0, v77, 0x204
	v_sub_f32_e32 v68, v68, v75
	v_trunc_f32_e32 v75, v73
	s_and_b32 s2, s1, s2
	v_cmp_neq_f32_e64 s4, 0x7f800000, |v74|
	v_cndmask_b32_e64 v76, v69, v77, s0
	v_cmp_eq_f32_e64 s0, 0x42b17218, v74
	v_sub_f32_e32 v68, v70, v68
	v_sub_f32_e32 v69, v69, v77
	v_cmp_eq_f32_e64 s3, v75, v73
	v_cndmask_b32_e64 v78, 0, 0x37000000, s0
	v_cmp_eq_f32_e64 s0, 0x42b17218, v76
	v_cndmask_b32_e64 v68, 0, v68, s4
	v_sub_f32_e32 v69, v72, v69
	v_cndmask_b32_e64 v72, 1.0, v63, s2
	v_sub_f32_e32 v80, v74, v78
	v_cndmask_b32_e64 v79, 0, 0x37000000, s0
	v_add_f32_e32 v68, v78, v68
	v_trunc_f32_e32 v74, v84
	v_cmp_eq_f32_e64 s0, 0, v63
	v_mul_f32_e32 v82, 0x3fb8aa3b, v80
	v_sub_f32_e32 v81, v76, v79
	v_cmp_ngt_f32_e64 s4, 0xc2ce8ed0, v80
	v_cndmask_b32_e64 v83, 0x7f800000, 0, s0
	v_fma_f32 v87, 0x3fb8aa3b, v80, -v82
	v_mul_f32_e32 v85, 0x3fb8aa3b, v81
	v_rndne_f32_e32 v88, v82
	s_or_b32 s0, s0, s12
	s_mov_b32 s12, 0x7fffff
	v_fmac_f32_e32 v87, 0x32a5705f, v80
	v_fma_f32 v90, 0x3fb8aa3b, v81, -v85
	v_rndne_f32_e32 v91, v85
	v_sub_f32_e32 v82, v82, v88
	v_fmac_f32_e32 v90, 0x32a5705f, v81
	v_sub_f32_e32 v71, v85, v91
	v_add_f32_e32 v82, v82, v87
	v_cvt_i32_f32_e32 v73, v91
	v_add_f32_e32 v71, v71, v90
	v_exp_f32_e32 v82, v82
	v_exp_f32_e32 v70, v71
	v_cvt_i32_f32_e32 v71, v88
	v_ldexp_f32 v71, v82, v71
	v_ldexp_f32 v70, v70, v73
	v_cndmask_b32_e64 v71, 0, v71, s4
	v_cmp_neq_f32_e64 s4, 0x7f800000, |v76|
	v_cndmask_b32_e64 v69, 0, v69, s4
	v_cmp_ngt_f32_e64 s4, 0xc2ce8ed0, v81
	v_add_f32_e32 v69, v79, v69
	v_cndmask_b32_e64 v70, 0, v70, s4
	v_cmp_nlt_f32_e64 s4, 0x42b17218, v80
	v_cndmask_b32_e64 v71, 0x7f800000, v71, s4
	v_cmp_nlt_f32_e64 s4, 0x42b17218, v81
	v_fma_f32 v68, v71, v68, v71
	v_cndmask_b32_e64 v70, 0x7f800000, v70, s4
	v_cmp_class_f32_e64 s5, v71, 0x204
	v_cmp_neq_f32_e64 s4, v74, v84
	v_fma_f32 v69, v70, v69, v70
	v_cndmask_b32_e64 v68, v68, v71, s5
	v_cmp_class_f32_e64 s5, v70, 0x204
	s_and_b32 s4, s3, s4
	v_cndmask_b32_e64 v71, 1.0, v62, s4
	v_bfi_b32 v68, 0x7fffffff, v68, v72
	v_cndmask_b32_e64 v69, v69, v70, s5
	v_cndmask_b32_e64 v70, 0, v63, s2
	v_cmp_eq_f32_e64 s2, 0, v62
	v_cndmask_b32_e64 v73, 0x7fc00000, v68, s1
	v_bfi_b32 v69, 0x7fffffff, v69, v71
	v_cmp_gt_f32_e64 s1, 0, v63
	v_cndmask_b32_e64 v72, 0x7f800000, 0, s2
	v_cndmask_b32_e64 v71, 0, v62, s4
	v_cmp_class_f32_e64 s4, v62, 0x204
	v_cndmask_b32_e64 v74, 0x7fc00000, v69, s3
	v_cndmask_b32_e64 v68, v68, v73, s1
	v_cmp_gt_f32_e64 s1, 0, v62
	v_bfi_b32 v70, 0x7fffffff, v83, v70
	v_bfi_b32 v71, 0x7fffffff, v72, v71
	s_mov_b32 s3, 0
	v_cndmask_b32_e64 v69, v69, v74, s1
	v_cndmask_b32_e64 v68, v68, v70, s0
	s_or_b32 s0, s2, s4
	v_cndmask_b32_e64 v69, v69, v71, s0
	v_cmp_o_f32_e64 s0, v63, v63
	v_cndmask_b32_e64 v63, 0x7fc00000, v68, s0
	v_cmp_o_f32_e64 s0, v62, v62
	v_cndmask_b32_e64 v62, 0x7fc00000, v69, s0
	v_add_f32_e32 v68, v63, v62
	v_mov_b32_e32 v63, 0
.LBB1_16:                               ; =>This Inner Loop Header: Depth=1
	s_add_i32 s13, s3, 1
                                        ; implicit-def: $vgpr71
	s_mov_b32 s1, exec_lo
	s_mov_b32 m0, s13
	s_waitcnt vmcnt(0)
	v_movrels_b32_e32 v62, v30
	v_add_f32_e32 v62, -1.0, v62
	v_fma_f32 v62, 0x3e800000, v62, 1.0
	v_mul_f32_e32 v69, 0x40490e56, v62
                                        ; implicit-def: $vgpr62
	v_and_b32_e32 v70, 0x7fffffff, v69
	v_cmpx_ngt_f32_e64 0x48000000, |v69|
	s_xor_b32 s4, exec_lo, s1
	s_cbranch_execz .LBB1_18
; %bb.17:                               ;   in Loop: Header=BB1_16 Depth=1
	v_and_or_b32 v78, v70, s12, 0x800000
	v_lshrrev_b32_e32 v76, 23, v70
	v_mad_u64_u32 v[71:72], null, 0xfe5163ab, v78, 0
	v_add_nc_u32_e32 v77, 0xffffff88, v76
	v_cmp_lt_u32_e64 s0, 63, v77
	v_mov_b32_e32 v62, v72
	v_cndmask_b32_e64 v79, 0, 0xffffffc0, s0
	v_mad_u64_u32 v[72:73], null, 0x3c439041, v78, v[62:63]
	v_add_nc_u32_e32 v79, v79, v77
	v_mov_b32_e32 v62, v73
	v_cmp_lt_u32_e64 s1, 31, v79
	v_mad_u64_u32 v[73:74], null, 0xdb629599, v78, v[62:63]
	v_cndmask_b32_e64 v80, 0, 0xffffffe0, s1
	v_add_nc_u32_e32 v79, v80, v79
	v_mov_b32_e32 v62, v74
	v_cndmask_b32_e64 v71, v73, v71, s0
	v_cmp_lt_u32_e64 s2, 31, v79
	v_mad_u64_u32 v[74:75], null, 0xf534ddc0, v78, v[62:63]
	v_mov_b32_e32 v62, v75
	v_cndmask_b32_e64 v72, v74, v72, s0
	v_mad_u64_u32 v[75:76], null, 0xfc2757d1, v78, v[62:63]
	v_cndmask_b32_e64 v71, v72, v71, s1
	v_mov_b32_e32 v62, v76
	v_mad_u64_u32 v[76:77], null, 0x4e441529, v78, v[62:63]
	v_mov_b32_e32 v62, v77
	v_cndmask_b32_e64 v80, v76, v74, s0
	v_mad_u64_u32 v[77:78], null, 0xa2f9836e, v78, v[62:63]
	v_cndmask_b32_e64 v62, 0, 0xffffffe0, s2
	v_add_nc_u32_e32 v62, v62, v79
	v_cndmask_b32_e64 v77, v77, v75, s0
	v_cndmask_b32_e64 v76, v78, v76, s0
	;; [unrolled: 1-line block ×3, first 2 shown]
	v_sub_nc_u32_e32 v78, 32, v62
	v_cndmask_b32_e64 v74, v77, v80, s1
	v_cndmask_b32_e64 v76, v76, v77, s1
	;; [unrolled: 1-line block ×4, first 2 shown]
	v_cmp_eq_u32_e64 s0, 0, v62
	v_cndmask_b32_e64 v76, v76, v74, s2
	v_cndmask_b32_e64 v74, v74, v77, s2
	;; [unrolled: 1-line block ×4, first 2 shown]
	v_alignbit_b32 v79, v76, v74, v78
	v_alignbit_b32 v73, v74, v77, v78
	v_cndmask_b32_e64 v62, v79, v76, s0
	v_cndmask_b32_e64 v72, v73, v74, s0
	v_alignbit_b32 v76, v77, v71, v78
	v_bfe_u32 v73, v62, 29, 1
	v_alignbit_b32 v74, v62, v72, 30
	v_cndmask_b32_e64 v76, v76, v77, s0
	v_sub_nc_u32_e32 v75, 0, v73
	v_alignbit_b32 v72, v72, v76, 30
	v_alignbit_b32 v71, v76, v71, 30
	v_xor_b32_e32 v74, v74, v75
	v_xor_b32_e32 v72, v72, v75
	v_xor_b32_e32 v71, v71, v75
	v_lshrrev_b32_e32 v75, 29, v62
	v_ffbh_u32_e32 v77, v74
	v_min_u32_e32 v77, 32, v77
	v_sub_nc_u32_e32 v76, 31, v77
	v_lshlrev_b32_e32 v78, 23, v77
	v_alignbit_b32 v74, v74, v72, v76
	v_alignbit_b32 v71, v72, v71, v76
	v_lshlrev_b32_e32 v72, 31, v75
	v_alignbit_b32 v75, v74, v71, 9
	v_or_b32_e32 v76, 0.5, v72
	v_lshrrev_b32_e32 v74, 9, v74
	v_or_b32_e32 v72, 0x33000000, v72
	v_ffbh_u32_e32 v79, v75
	v_sub_nc_u32_e32 v76, v76, v78
	v_min_u32_e32 v78, 32, v79
	v_or_b32_e32 v74, v74, v76
	v_not_b32_e32 v76, v78
	v_mul_f32_e32 v79, 0x3fc90fda, v74
	v_add_lshl_u32 v77, v78, v77, 23
	v_alignbit_b32 v71, v75, v71, v76
	v_fma_f32 v75, 0x3fc90fda, v74, -v79
	v_sub_nc_u32_e32 v72, v72, v77
	v_lshrrev_b32_e32 v71, 9, v71
	v_fmac_f32_e32 v75, 0x33a22168, v74
	v_or_b32_e32 v71, v72, v71
	v_fmac_f32_e32 v75, 0x3fc90fda, v71
	v_lshrrev_b32_e32 v71, 30, v62
	v_add_f32_e32 v62, v79, v75
	v_add_nc_u32_e32 v71, v73, v71
.LBB1_18:                               ;   in Loop: Header=BB1_16 Depth=1
	s_andn2_saveexec_b32 s0, s4
; %bb.19:                               ;   in Loop: Header=BB1_16 Depth=1
	v_mul_f32_e64 v62, 0x3f22f983, |v69|
	v_rndne_f32_e32 v71, v62
	v_fma_f32 v62, 0xbfc90fda, v71, |v69|
	v_fmac_f32_e32 v62, 0xb3a22168, v71
	v_fmac_f32_e32 v62, 0xa7c234c4, v71
	v_cvt_i32_f32_e32 v71, v71
; %bb.20:                               ;   in Loop: Header=BB1_16 Depth=1
	s_or_b32 exec_lo, exec_lo, s0
	v_mul_f32_e32 v72, v62, v62
	s_mov_b32 m0, s3
	v_and_b32_e32 v76, 1, v71
	v_movrels_b32_e32 v75, v30
	v_lshlrev_b32_e32 v71, 30, v71
	v_fmaak_f32 v73, s8, v72, 0x3c0881c4
	v_fmaak_f32 v74, s9, v72, 0xbab64f3b
	v_cmp_eq_u32_e64 s0, 0, v76
	v_add_f32_e32 v75, -1.0, v75
	v_xor_b32_e32 v70, v70, v69
	v_fmaak_f32 v73, v72, v73, 0xbe2aaa9d
	v_fmaak_f32 v74, v72, v74, 0x3d2aabf7
	v_and_b32_e32 v71, 0x80000000, v71
	v_mul_f32_e32 v73, v72, v73
	v_fmaak_f32 v74, v72, v74, 0xbf000004
	v_fmac_f32_e32 v62, v62, v73
	v_fma_f32 v72, v72, v74, 1.0
	v_fma_f32 v73, 0x3e800000, v75, 1.0
	v_cndmask_b32_e64 v72, v72, v62, s0
	v_add_f32_e32 v62, -1.0, v73
	v_cmp_class_f32_e64 s0, v69, 0x1f8
	v_xor3_b32 v70, v70, v71, v72
	v_frexp_mant_f32_e64 v71, |v62|
	v_cndmask_b32_e64 v69, 0x7fc00000, v70, s0
	v_cmp_gt_f32_e64 s0, 0x3f2aaaab, v71
	v_frexp_mant_f32_e64 v72, |v69|
	v_cndmask_b32_e64 v70, 1.0, 2.0, s0
	v_cmp_eq_f32_e64 s5, 0, v69
	v_cmp_gt_f32_e64 s1, 0x3f2aaaab, v72
	v_mul_f32_e32 v70, v71, v70
	v_cndmask_b32_e64 v71, 1.0, 2.0, s1
	v_add_f32_e32 v73, 1.0, v70
	v_add_f32_e32 v75, -1.0, v70
	v_mul_f32_e32 v71, v72, v71
	v_rcp_f32_e32 v72, v73
	v_add_f32_e32 v79, -1.0, v73
	v_add_f32_e32 v74, 1.0, v71
	v_add_f32_e32 v78, -1.0, v71
	v_sub_f32_e32 v70, v70, v79
	v_rcp_f32_e32 v76, v74
	v_mul_f32_e32 v77, v75, v72
	v_add_f32_e32 v79, -1.0, v74
	v_mul_f32_e32 v80, v73, v77
	v_mul_f32_e32 v81, v78, v76
	v_fma_f32 v73, v77, v73, -v80
	v_mul_f32_e32 v82, v74, v81
	v_fmac_f32_e32 v73, v77, v70
	v_sub_f32_e32 v70, v71, v79
	v_fma_f32 v71, v81, v74, -v82
	v_add_f32_e32 v74, v80, v73
	v_fmac_f32_e32 v71, v81, v70
	v_sub_f32_e32 v70, v75, v74
	v_sub_f32_e32 v80, v74, v80
	v_add_f32_e32 v79, v82, v71
	v_sub_f32_e32 v75, v75, v70
	v_sub_f32_e32 v73, v80, v73
	;; [unrolled: 1-line block ×6, first 2 shown]
	v_add_f32_e32 v73, v73, v74
	v_sub_f32_e32 v71, v75, v71
	v_sub_f32_e32 v74, v78, v79
	v_add_f32_e32 v70, v70, v73
	v_add_f32_e32 v71, v71, v74
	v_mul_f32_e32 v70, v72, v70
	v_add_f32_e32 v71, v83, v71
	v_add_f32_e32 v74, v77, v70
	v_mul_f32_e32 v71, v76, v71
	v_sub_f32_e32 v72, v74, v77
	v_mul_f32_e32 v73, v74, v74
	v_add_f32_e32 v75, v81, v71
	v_sub_f32_e32 v76, v70, v72
	v_fma_f32 v77, v74, v74, -v73
	v_sub_f32_e32 v70, v75, v81
	v_add_f32_e32 v72, v76, v76
	v_mul_f32_e32 v78, v75, v75
	v_sub_f32_e32 v79, v71, v70
	v_fmac_f32_e32 v77, v74, v72
	v_fma_f32 v80, v75, v75, -v78
	v_add_f32_e32 v70, v79, v79
	v_add_f32_e32 v81, v73, v77
	v_fmac_f32_e32 v80, v75, v70
	v_fmaak_f32 v70, s11, v81, 0x3e91f4c4
	v_sub_f32_e32 v85, v81, v73
	v_cvt_f64_f32_e64 v[72:73], |v69|
	v_add_f32_e32 v82, v78, v80
	v_fmaak_f32 v83, v81, v70, 0x3ecccdef
	v_cvt_f64_f32_e64 v[70:71], |v62|
	v_sub_f32_e32 v77, v77, v85
	v_fmaak_f32 v84, s11, v82, 0x3e91f4c4
	v_mul_f32_e32 v86, v81, v83
	v_sub_f32_e32 v78, v82, v78
	v_fmaak_f32 v84, v82, v84, 0x3ecccdef
	v_fma_f32 v85, v81, v83, -v86
	v_sub_f32_e32 v78, v80, v78
	v_mul_f32_e32 v87, v82, v84
	v_fmac_f32_e32 v85, v77, v83
	v_mul_f32_e32 v83, v74, v81
	v_frexp_exp_i32_f64_e32 v72, v[72:73]
	v_fma_f32 v80, v82, v84, -v87
	v_add_f32_e32 v88, v86, v85
	v_frexp_exp_i32_f64_e32 v70, v[70:71]
	v_fma_f32 v71, v81, v74, -v83
	v_fmac_f32_e32 v80, v78, v84
	v_sub_f32_e32 v84, v88, v86
	v_add_f32_e32 v86, 0x3f2aaaaa, v88
	v_fmac_f32_e32 v71, v81, v76
	v_add_f32_e32 v89, v87, v80
	v_sub_f32_e32 v73, v85, v84
	v_add_f32_e32 v81, 0xbf2aaaaa, v86
	v_ldexp_f32 v76, v76, 1
	v_fmac_f32_e32 v71, v77, v74
	v_sub_f32_e32 v84, v89, v87
	v_add_f32_e32 v85, 0x3f2aaaaa, v89
	v_mul_f32_e32 v87, v75, v82
	v_add_f32_e32 v73, 0x31739010, v73
	v_sub_f32_e32 v81, v88, v81
	v_sub_f32_e32 v80, v80, v84
	v_add_f32_e32 v84, 0xbf2aaaaa, v85
	v_fma_f32 v88, v82, v75, -v87
	v_subrev_co_ci_u32_e64 v72, null, 0, v72, s1
	v_add_f32_e32 v73, v73, v81
	v_add_f32_e32 v77, 0x31739010, v80
	v_sub_f32_e32 v80, v89, v84
	v_fmac_f32_e32 v88, v82, v79
	v_subrev_co_ci_u32_e64 v70, null, 0, v70, s0
	v_add_f32_e32 v81, v86, v73
	v_add_f32_e32 v77, v77, v80
	v_fmac_f32_e32 v88, v78, v75
	v_add_f32_e32 v78, v83, v71
	v_cvt_f32_i32_e32 v70, v70
	v_sub_f32_e32 v80, v86, v81
	v_add_f32_e32 v82, v85, v77
	v_add_f32_e32 v84, v87, v88
	v_mul_f32_e32 v86, v78, v81
	v_sub_f32_e32 v83, v78, v83
	v_add_f32_e32 v73, v73, v80
	v_sub_f32_e32 v80, v85, v82
	v_mul_f32_e32 v85, v84, v82
	v_fma_f32 v89, v78, v81, -v86
	v_sub_f32_e32 v71, v71, v83
	v_sub_f32_e32 v83, v84, v87
	v_add_f32_e32 v77, v77, v80
	v_fma_f32 v80, v84, v82, -v85
	v_fmac_f32_e32 v89, v78, v73
	v_ldexp_f32 v75, v75, 1
	v_sub_f32_e32 v73, v88, v83
	v_cvt_f32_i32_e32 v72, v72
	v_fmac_f32_e32 v80, v84, v77
	v_fmac_f32_e32 v89, v71, v81
	v_mul_f32_e32 v71, 0x3f317218, v70
	v_ldexp_f32 v79, v79, 1
	v_mul_f32_e32 v81, 0x3f317218, v72
	v_fmac_f32_e32 v80, v73, v82
	v_ldexp_f32 v73, v74, 1
	v_add_f32_e32 v74, v86, v89
	v_fma_f32 v77, 0x3f317218, v70, -v71
	v_cmp_eq_f32_e64 s0, 1.0, v62
	v_add_f32_e32 v78, v85, v80
	v_add_f32_e32 v82, v73, v74
	v_sub_f32_e32 v83, v74, v86
	v_fmac_f32_e32 v77, 0xb102e308, v70
	v_add_f32_e32 v84, v75, v78
	v_sub_f32_e32 v85, v78, v85
	v_sub_f32_e32 v73, v82, v73
	;; [unrolled: 1-line block ×6, first 2 shown]
	v_add_f32_e32 v74, v76, v83
	v_fma_f32 v76, 0x3f317218, v72, -v81
	v_sub_f32_e32 v75, v78, v75
	v_add_f32_e32 v78, v79, v80
	v_add_f32_e32 v70, v74, v73
	v_fmac_f32_e32 v76, 0xb102e308, v72
	v_add_f32_e32 v73, v71, v77
	v_add_f32_e32 v72, v78, v75
	;; [unrolled: 1-line block ×4, first 2 shown]
	v_sub_f32_e32 v71, v73, v71
	v_add_f32_e32 v78, v84, v72
	v_add_f32_e32 v79, v73, v74
	v_sub_f32_e32 v81, v75, v81
	v_sub_f32_e32 v71, v77, v71
	v_add_f32_e32 v80, v75, v78
	v_sub_f32_e32 v77, v74, v82
	v_sub_f32_e32 v83, v79, v73
	;; [unrolled: 1-line block ×13, first 2 shown]
	v_add_f32_e32 v77, v71, v70
	v_add_f32_e32 v73, v74, v73
	v_add_f32_e32 v74, v76, v72
	v_add_f32_e32 v75, v78, v75
	v_sub_f32_e32 v78, v77, v71
	v_add_f32_e32 v73, v77, v73
	v_sub_f32_e32 v81, v74, v76
	v_add_f32_e32 v75, v74, v75
	;; [unrolled: 2-line block ×3, first 2 shown]
	v_sub_f32_e32 v70, v70, v78
	v_sub_f32_e32 v74, v74, v81
	v_add_f32_e32 v78, v80, v75
	v_sub_f32_e32 v71, v71, v77
	v_sub_f32_e32 v77, v82, v79
	;; [unrolled: 1-line block ×5, first 2 shown]
	v_add_f32_e32 v70, v70, v71
	v_sub_f32_e32 v71, v73, v77
	v_add_f32_e32 v72, v72, v74
	v_sub_f32_e32 v73, v75, v76
	v_add_f32_e32 v70, v70, v71
	v_add_f32_e32 v71, v72, v73
	v_cndmask_b32_e64 v72, 2.0, 1.0, s0
	v_add_f32_e32 v73, v82, v70
	v_cmp_eq_f32_e64 s0, 1.0, v69
	v_add_f32_e32 v74, v78, v71
	v_trunc_f32_e32 v84, v72
	v_sub_f32_e32 v76, v73, v82
	v_cndmask_b32_e64 v75, 2.0, 1.0, s0
	v_mul_f32_e32 v77, v72, v73
	v_sub_f32_e32 v78, v74, v78
	v_mul_f32_e32 v87, 0.5, v72
	v_sub_f32_e32 v70, v70, v76
	v_mul_f32_e32 v79, v75, v74
	v_fma_f32 v73, v72, v73, -v77
	v_sub_f32_e32 v71, v71, v78
	v_cmp_class_f32_e64 s0, v77, 0x204
	v_trunc_f32_e32 v90, v87
	v_fma_f32 v74, v75, v74, -v79
	v_fmac_f32_e32 v73, v72, v70
	v_cmp_neq_f32_e64 s1, v90, v87
	v_fmac_f32_e32 v74, v75, v71
	v_add_f32_e32 v70, v77, v73
	v_trunc_f32_e32 v87, v75
	v_add_f32_e32 v71, v79, v74
	v_cndmask_b32_e64 v76, v70, v77, s0
	v_cmp_class_f32_e64 s0, v79, 0x204
	v_sub_f32_e32 v70, v70, v77
	v_cmp_eq_f32_e64 s2, v87, v75
	v_cmp_neq_f32_e64 s3, 0x7f800000, |v76|
	v_cndmask_b32_e64 v78, v71, v79, s0
	v_cmp_eq_f32_e64 s0, 0x42b17218, v76
	v_sub_f32_e32 v70, v73, v70
	v_sub_f32_e32 v71, v71, v79
	v_cndmask_b32_e64 v80, 0, 0x37000000, s0
	v_cmp_eq_f32_e64 s0, 0x42b17218, v78
	v_cndmask_b32_e64 v70, 0, v70, s3
	v_sub_f32_e32 v71, v74, v71
	v_cmp_neq_f32_e64 s3, 0x7f800000, |v78|
	v_sub_f32_e32 v82, v76, v80
	v_cndmask_b32_e64 v81, 0, 0x37000000, s0
	v_cmp_eq_f32_e64 s0, v84, v72
	v_add_f32_e32 v70, v80, v70
	v_cndmask_b32_e64 v71, 0, v71, s3
	v_mul_f32_e32 v85, 0x3fb8aa3b, v82
	v_sub_f32_e32 v83, v78, v81
	s_and_b32 s1, s0, s1
	v_add_f32_e32 v71, v81, v71
	v_fma_f32 v72, 0x3fb8aa3b, v82, -v85
	v_mul_f32_e32 v86, 0x3fb8aa3b, v83
	v_rndne_f32_e32 v89, v85
	v_cmp_ngt_f32_e64 s3, 0xc2ce8ed0, v83
	v_cndmask_b32_e64 v74, 1.0, v62, s1
	v_fmac_f32_e32 v72, 0x32a5705f, v82
	v_fma_f32 v84, 0x3fb8aa3b, v83, -v86
	v_rndne_f32_e32 v88, v86
	v_sub_f32_e32 v85, v85, v89
	v_cvt_i32_f32_e32 v76, v89
	v_fmac_f32_e32 v84, 0x32a5705f, v83
	v_sub_f32_e32 v86, v86, v88
	v_add_f32_e32 v72, v85, v72
	v_add_f32_e32 v77, v86, v84
	v_mul_f32_e32 v84, 0.5, v75
	v_exp_f32_e32 v72, v72
	v_cvt_i32_f32_e32 v75, v88
	v_exp_f32_e32 v73, v77
	v_trunc_f32_e32 v77, v84
	v_ldexp_f32 v72, v72, v76
	v_cndmask_b32_e64 v76, 0, v62, s1
	v_cmp_class_f32_e64 s1, v62, 0x204
	v_ldexp_f32 v73, v73, v75
	v_cndmask_b32_e64 v73, 0, v73, s3
	v_cmp_ngt_f32_e64 s3, 0xc2ce8ed0, v82
	v_cndmask_b32_e64 v72, 0, v72, s3
	v_cmp_nlt_f32_e64 s3, 0x42b17218, v83
	v_cndmask_b32_e64 v73, 0x7f800000, v73, s3
	v_cmp_nlt_f32_e64 s3, 0x42b17218, v82
	v_fma_f32 v71, v73, v71, v73
	v_cndmask_b32_e64 v72, 0x7f800000, v72, s3
	v_cmp_class_f32_e64 s4, v73, 0x204
	v_cmp_neq_f32_e64 s3, v77, v84
	v_fma_f32 v70, v72, v70, v72
	v_cndmask_b32_e64 v71, v71, v73, s4
	v_cmp_class_f32_e64 s4, v72, 0x204
	s_and_b32 s3, s2, s3
	v_cndmask_b32_e64 v73, 0x7f800000, 0, s5
	v_cndmask_b32_e64 v75, 1.0, v69, s3
	v_cndmask_b32_e64 v70, v70, v72, s4
	v_cmp_eq_f32_e64 s4, 0, v62
	v_bfi_b32 v71, 0x7fffffff, v71, v75
	v_bfi_b32 v70, 0x7fffffff, v70, v74
	v_cndmask_b32_e64 v74, 0, v69, s3
	v_cndmask_b32_e64 v72, 0x7f800000, 0, s4
	;; [unrolled: 1-line block ×3, first 2 shown]
	v_cmp_class_f32_e64 s3, v69, 0x204
	v_cndmask_b32_e64 v77, 0x7fc00000, v70, s0
	v_cmp_gt_f32_e64 s0, 0, v69
	v_bfi_b32 v73, 0x7fffffff, v73, v74
	v_bfi_b32 v72, 0x7fffffff, v72, v76
	v_cndmask_b32_e64 v71, v71, v75, s0
	v_cmp_gt_f32_e64 s0, 0, v62
	v_cndmask_b32_e64 v70, v70, v77, s0
	s_or_b32 s0, s5, s3
	v_cndmask_b32_e64 v71, v71, v73, s0
	s_or_b32 s0, s4, s1
	s_cmp_lg_u32 s13, 29
	v_cndmask_b32_e64 v70, v70, v72, s0
	v_cmp_o_f32_e64 s0, v62, v62
	v_fma_f32 v71, 0x41200000, v71, 1.0
	v_cndmask_b32_e64 v62, 0x7fc00000, v70, s0
	v_cmp_o_f32_e64 s0, v69, v69
	v_cndmask_b32_e64 v69, 0x7fc00000, v71, s0
	v_fmac_f32_e32 v68, v62, v69
	s_cbranch_scc0 .LBB1_22
; %bb.21:                               ;   in Loop: Header=BB1_16 Depth=1
	s_mov_b32 s3, s13
	s_branch .LBB1_16
.LBB1_22:
	v_cmp_lt_f32_e64 s0, v67, v68
	s_and_b32 exec_lo, exec_lo, s0
	s_cbranch_execz .LBB1_213
; %bb.23:
	global_store_dwordx4 v[60:61], v[0:3], off
	global_store_dwordx4 v[60:61], v[4:7], off offset:16
	global_store_dwordx4 v[60:61], v[8:11], off offset:32
	;; [unrolled: 1-line block ×6, first 2 shown]
	global_store_dwordx2 v[60:61], v[28:29], off offset:112
                                        ; implicit-def: $vgpr31
                                        ; implicit-def: $vgpr30
	s_and_saveexec_b32 s0, s10
	s_xor_b32 s3, exec_lo, s0
	s_cbranch_execz .LBB1_25
; %bb.24:
	s_mov_b32 s0, 0x7fffff
	v_mov_b32_e32 v32, 0
	v_and_or_b32 v39, v65, s0, 0x800000
	v_lshrrev_b32_e32 v37, 23, v65
	v_mad_u64_u32 v[30:31], null, 0xfe5163ab, v39, 0
	v_add_nc_u32_e32 v38, 0xffffff88, v37
	v_cmp_lt_u32_e64 s0, 63, v38
	v_mad_u64_u32 v[33:34], null, 0x3c439041, v39, v[31:32]
	v_cndmask_b32_e64 v40, 0, 0xffffffc0, s0
	v_mov_b32_e32 v31, v34
	v_add_nc_u32_e32 v40, v40, v38
	v_mad_u64_u32 v[34:35], null, 0xdb629599, v39, v[31:32]
	v_cmp_lt_u32_e64 s1, 31, v40
	v_cndmask_b32_e64 v41, 0, 0xffffffe0, s1
	v_mov_b32_e32 v31, v35
	v_cndmask_b32_e64 v30, v34, v30, s0
	v_mad_u64_u32 v[35:36], null, 0xf534ddc0, v39, v[31:32]
	v_mov_b32_e32 v31, v36
	v_cndmask_b32_e64 v33, v35, v33, s0
	v_mad_u64_u32 v[36:37], null, 0xfc2757d1, v39, v[31:32]
	v_cndmask_b32_e64 v30, v33, v30, s1
	v_mov_b32_e32 v31, v37
	v_mad_u64_u32 v[37:38], null, 0x4e441529, v39, v[31:32]
	v_mov_b32_e32 v31, v38
	v_add_nc_u32_e32 v38, v41, v40
	v_cndmask_b32_e64 v40, v37, v35, s0
	v_mad_u64_u32 v[31:32], null, 0xa2f9836e, v39, v[31:32]
	v_cmp_lt_u32_e64 s2, 31, v38
	v_cndmask_b32_e64 v39, 0, 0xffffffe0, s2
	v_cndmask_b32_e64 v31, v31, v36, s0
	;; [unrolled: 1-line block ×4, first 2 shown]
	v_add_nc_u32_e32 v37, v39, v38
	v_cndmask_b32_e64 v35, v31, v40, s1
	v_cndmask_b32_e64 v31, v32, v31, s1
	;; [unrolled: 1-line block ×4, first 2 shown]
	v_sub_nc_u32_e32 v38, 32, v37
	v_cmp_eq_u32_e64 s0, 0, v37
	v_cndmask_b32_e64 v31, v31, v35, s2
	v_cndmask_b32_e64 v35, v35, v32, s2
	v_cndmask_b32_e64 v32, v32, v36, s2
	v_cndmask_b32_e64 v30, v36, v30, s2
	v_alignbit_b32 v39, v31, v35, v38
	v_alignbit_b32 v34, v35, v32, v38
	;; [unrolled: 1-line block ×3, first 2 shown]
	v_cndmask_b32_e64 v31, v39, v31, s0
	v_cndmask_b32_e64 v33, v34, v35, s0
	v_cndmask_b32_e64 v32, v37, v32, s0
	v_bfe_u32 v34, v31, 29, 1
	v_alignbit_b32 v35, v31, v33, 30
	v_alignbit_b32 v33, v33, v32, 30
	;; [unrolled: 1-line block ×3, first 2 shown]
	v_sub_nc_u32_e32 v36, 0, v34
	v_xor_b32_e32 v35, v35, v36
	v_xor_b32_e32 v32, v33, v36
	;; [unrolled: 1-line block ×3, first 2 shown]
	v_lshrrev_b32_e32 v36, 29, v31
	v_lshrrev_b32_e32 v31, 30, v31
	v_ffbh_u32_e32 v37, v35
	v_add_nc_u32_e32 v31, v34, v31
	v_min_u32_e32 v37, 32, v37
	v_sub_nc_u32_e32 v33, 31, v37
	v_lshlrev_b32_e32 v38, 23, v37
	v_alignbit_b32 v35, v35, v32, v33
	v_alignbit_b32 v30, v32, v30, v33
	v_lshlrev_b32_e32 v32, 31, v36
	v_alignbit_b32 v33, v35, v30, 9
	v_or_b32_e32 v36, 0.5, v32
	v_lshrrev_b32_e32 v35, 9, v35
	v_or_b32_e32 v32, 0x33000000, v32
	v_ffbh_u32_e32 v39, v33
	v_sub_nc_u32_e32 v36, v36, v38
	v_min_u32_e32 v38, 32, v39
	v_or_b32_e32 v35, v35, v36
	v_not_b32_e32 v36, v38
	v_mul_f32_e32 v39, 0x3fc90fda, v35
	v_add_lshl_u32 v37, v38, v37, 23
	v_alignbit_b32 v30, v33, v30, v36
	v_fma_f32 v33, 0x3fc90fda, v35, -v39
	v_sub_nc_u32_e32 v32, v32, v37
	v_lshrrev_b32_e32 v30, 9, v30
	v_fmamk_f32 v33, v35, 0x33a22168, v33
	v_or_b32_e32 v30, v32, v30
	v_fmac_f32_e32 v33, 0x3fc90fda, v30
	v_add_f32_e32 v30, v39, v33
.LBB1_25:
	s_andn2_saveexec_b32 s0, s3
; %bb.26:
	v_mul_f32_e64 v30, 0x3f22f983, |v64|
	v_rndne_f32_e32 v31, v30
	v_fma_f32 v30, 0xbfc90fda, v31, |v64|
	v_fmamk_f32 v30, v31, 0xb3a22168, v30
	v_fmamk_f32 v30, v31, 0xa7c234c4, v30
	v_cvt_i32_f32_e32 v31, v31
; %bb.27:
	s_or_b32 exec_lo, exec_lo, s0
	v_mul_f32_e32 v32, v30, v30
	s_mov_b32 s5, 0xb94c1982
	s_mov_b32 s10, 0x37d75334
	v_lshlrev_b32_e32 v35, 30, v31
	v_and_b32_e32 v31, 1, v31
	v_fmaak_f32 v33, s5, v32, 0x3c0881c4
	v_fmaak_f32 v34, s10, v32, 0xbab64f3b
	s_mov_b32 s11, 0x3e76c4e1
	v_and_b32_e32 v35, 0x80000000, v35
	v_cmp_eq_u32_e64 s0, 0, v31
	v_fmaak_f32 v33, v32, v33, 0xbe2aaa9d
	v_fmaak_f32 v34, v32, v34, 0x3d2aabf7
	s_mov_b64 s[8:9], 1
	s_mov_b32 s12, 0x7fffff
	v_mul_f32_e32 v33, v32, v33
	v_fmaak_f32 v34, v32, v34, 0xbf000004
	v_fmac_f32_e32 v30, v30, v33
	v_fma_f32 v32, v32, v34, 1.0
	v_xor_b32_e32 v33, v65, v35
	v_cndmask_b32_e64 v30, v32, v30, s0
	v_xor3_b32 v30, v33, v30, v64
	v_cndmask_b32_e32 v32, 0x7fc00000, v30, vcc_lo
	v_frexp_mant_f32_e64 v30, |v32|
	v_cmp_gt_f32_e32 vcc_lo, 0x3f2aaaab, v30
	v_cndmask_b32_e64 v31, 1.0, 2.0, vcc_lo
	v_mul_f32_e32 v30, v30, v31
	v_add_f32_e32 v31, 1.0, v30
	v_add_f32_e32 v34, -1.0, v30
	v_rcp_f32_e32 v33, v31
	v_add_f32_e32 v36, -1.0, v31
	v_sub_f32_e32 v30, v30, v36
	v_mul_f32_e32 v35, v34, v33
	v_mul_f32_e32 v37, v31, v35
	v_fma_f32 v31, v35, v31, -v37
	v_fmac_f32_e32 v31, v35, v30
	v_add_f32_e32 v30, v37, v31
	v_sub_f32_e32 v36, v34, v30
	v_sub_f32_e32 v37, v30, v37
	;; [unrolled: 1-line block ×5, first 2 shown]
	v_add_f32_e32 v30, v31, v30
	v_add_f32_e32 v30, v36, v30
	v_mul_f32_e32 v30, v33, v30
	v_add_f32_e32 v33, v35, v30
	v_sub_f32_e32 v31, v33, v35
	v_mul_f32_e32 v34, v33, v33
	v_sub_f32_e32 v35, v30, v31
	v_fma_f32 v30, v33, v33, -v34
	v_add_f32_e32 v31, v35, v35
	v_fmac_f32_e32 v30, v33, v31
	v_add_f32_e32 v36, v34, v30
	v_fmaak_f32 v31, s11, v36, 0x3e91f4c4
	v_sub_f32_e32 v34, v36, v34
	v_mul_f32_e32 v41, v33, v36
	v_fmaak_f32 v31, v36, v31, 0x3ecccdef
	v_sub_f32_e32 v34, v30, v34
	v_fma_f32 v42, v36, v33, -v41
	v_mul_f32_e32 v37, v36, v31
	v_fmac_f32_e32 v42, v36, v35
	v_ldexp_f32 v35, v35, 1
	v_fma_f32 v38, v36, v31, -v37
	v_fmac_f32_e32 v42, v34, v33
	v_fmac_f32_e32 v38, v34, v31
	v_cvt_f64_f32_e64 v[30:31], |v32|
	v_add_f32_e32 v39, v37, v38
	v_sub_f32_e32 v37, v39, v37
	v_add_f32_e32 v40, 0x3f2aaaaa, v39
	v_sub_f32_e32 v37, v38, v37
	v_add_f32_e32 v38, 0xbf2aaaaa, v40
	v_add_f32_e32 v37, 0x31739010, v37
	v_sub_f32_e32 v38, v39, v38
	v_frexp_exp_i32_f64_e32 v30, v[30:31]
	v_add_f32_e32 v36, v37, v38
	v_add_f32_e32 v37, v41, v42
	;; [unrolled: 1-line block ×3, first 2 shown]
	v_sub_f32_e32 v39, v37, v41
	v_sub_f32_e32 v31, v40, v34
	v_mul_f32_e32 v38, v37, v34
	v_sub_f32_e32 v39, v42, v39
	v_add_f32_e32 v31, v36, v31
	v_fma_f32 v36, v37, v34, -v38
	v_subrev_co_ci_u32_e64 v30, null, 0, v30, vcc_lo
	v_fmac_f32_e32 v36, v37, v31
	v_ldexp_f32 v31, v33, 1
	v_cmp_eq_f32_e32 vcc_lo, 1.0, v32
	v_cvt_f32_i32_e32 v30, v30
	v_fmac_f32_e32 v36, v39, v34
	v_add_f32_e32 v33, v38, v36
	v_add_f32_e32 v34, v31, v33
	v_sub_f32_e32 v37, v33, v38
	v_mul_f32_e32 v38, 0x3f317218, v30
	v_sub_f32_e32 v31, v34, v31
	v_sub_f32_e32 v36, v36, v37
	v_fma_f32 v37, 0x3f317218, v30, -v38
	v_sub_f32_e32 v31, v33, v31
	v_add_f32_e32 v33, v35, v36
	v_fmac_f32_e32 v37, 0xb102e308, v30
	v_add_f32_e32 v30, v33, v31
	v_add_f32_e32 v31, v38, v37
	;; [unrolled: 1-line block ×3, first 2 shown]
	v_sub_f32_e32 v38, v31, v38
	v_add_f32_e32 v35, v31, v33
	v_sub_f32_e32 v34, v33, v34
	v_sub_f32_e32 v37, v37, v38
	;; [unrolled: 1-line block ×6, first 2 shown]
	v_add_f32_e32 v34, v37, v30
	v_sub_f32_e32 v31, v31, v39
	v_add_f32_e32 v31, v33, v31
	v_sub_f32_e32 v33, v34, v37
	;; [unrolled: 2-line block ×3, first 2 shown]
	v_sub_f32_e32 v30, v30, v33
	v_add_f32_e32 v36, v35, v31
	v_sub_f32_e32 v33, v37, v34
	v_sub_f32_e32 v34, v36, v35
	v_add_f32_e32 v30, v30, v33
	v_cndmask_b32_e64 v33, 2.0, 1.0, vcc_lo
	v_sub_f32_e32 v31, v31, v34
	v_add_f32_e32 v30, v30, v31
	v_add_f32_e32 v31, v36, v30
	v_sub_f32_e32 v34, v31, v36
	v_mul_f32_e32 v35, v33, v31
	v_sub_f32_e32 v30, v30, v34
	v_fma_f32 v31, v33, v31, -v35
	v_cmp_class_f32_e64 vcc_lo, v35, 0x204
	v_fmac_f32_e32 v31, v33, v30
	v_add_f32_e32 v30, v35, v31
	v_cndmask_b32_e32 v34, v30, v35, vcc_lo
	v_sub_f32_e32 v30, v30, v35
	v_cmp_eq_f32_e32 vcc_lo, 0x42b17218, v34
	v_sub_f32_e32 v30, v31, v30
	v_cndmask_b32_e64 v36, 0, 0x37000000, vcc_lo
	v_cmp_neq_f32_e64 vcc_lo, 0x7f800000, |v34|
	v_sub_f32_e32 v37, v34, v36
	v_cndmask_b32_e32 v30, 0, v30, vcc_lo
	v_trunc_f32_e32 v34, v33
	v_mul_f32_e32 v38, 0x3fb8aa3b, v37
	v_cmp_ngt_f32_e32 vcc_lo, 0xc2ce8ed0, v37
	v_add_f32_e32 v30, v36, v30
	v_fma_f32 v39, 0x3fb8aa3b, v37, -v38
	v_rndne_f32_e32 v40, v38
	v_fmac_f32_e32 v39, 0x32a5705f, v37
	v_sub_f32_e32 v38, v38, v40
	v_cvt_i32_f32_e32 v35, v40
	v_add_f32_e32 v38, v38, v39
	v_exp_f32_e32 v38, v38
	v_ldexp_f32 v31, v38, v35
	v_mul_f32_e32 v35, 0.5, v33
	v_cndmask_b32_e32 v31, 0, v31, vcc_lo
	v_cmp_nlt_f32_e32 vcc_lo, 0x42b17218, v37
	v_trunc_f32_e32 v38, v35
	v_cndmask_b32_e32 v31, 0x7f800000, v31, vcc_lo
	v_cmp_eq_f32_e32 vcc_lo, v34, v33
	v_cmp_neq_f32_e64 s0, v38, v35
	v_fma_f32 v30, v31, v30, v31
	v_cmp_class_f32_e64 s1, v31, 0x204
	s_and_b32 s0, vcc_lo, s0
	v_cndmask_b32_e64 v33, 1.0, v32, s0
	v_cndmask_b32_e64 v30, v30, v31, s1
	v_cmp_eq_f32_e64 s1, 0, v32
	v_bfi_b32 v30, 0x7fffffff, v30, v33
	v_cndmask_b32_e64 v31, 0x7f800000, 0, s1
	v_cndmask_b32_e64 v33, 0, v32, s0
	v_cmp_class_f32_e64 s0, v32, 0x204
	v_cndmask_b32_e32 v34, 0x7fc00000, v30, vcc_lo
	v_cmp_gt_f32_e32 vcc_lo, 0, v32
	v_bfi_b32 v31, 0x7fffffff, v31, v33
	v_cndmask_b32_e32 v30, v30, v34, vcc_lo
	s_or_b32 vcc_lo, s1, s0
	v_cndmask_b32_e32 v30, v30, v31, vcc_lo
	v_cmp_o_f32_e32 vcc_lo, v32, v32
	v_mov_b32_e32 v31, 0
	v_cndmask_b32_e32 v30, 0x7fc00000, v30, vcc_lo
	v_add_f32_e32 v32, v66, v30
	s_branch .LBB1_29
.LBB1_28:                               ;   in Loop: Header=BB1_29 Depth=1
	s_or_b32 exec_lo, exec_lo, s0
	v_mul_f32_e32 v36, v30, v30
	v_and_b32_e32 v39, 1, v35
	s_add_i32 m0, s8, -1
	v_lshlrev_b32_e32 v35, 30, v35
	v_movrels_b32_e32 v40, v0
	v_fmaak_f32 v37, s5, v36, 0x3c0881c4
	v_fmaak_f32 v38, s10, v36, 0xbab64f3b
	v_cmp_eq_u32_e32 vcc_lo, 0, v39
	v_xor_b32_e32 v34, v34, v33
	v_and_b32_e32 v35, 0x80000000, v35
	v_fmaak_f32 v37, v36, v37, 0xbe2aaa9d
	v_fmaak_f32 v38, v36, v38, 0x3d2aabf7
	v_mul_f32_e32 v37, v36, v37
	v_fmaak_f32 v38, v36, v38, 0xbf000004
	v_fmac_f32_e32 v30, v30, v37
	v_fma_f32 v36, v36, v38, 1.0
	v_add_f32_e32 v37, -1.0, v40
	v_cndmask_b32_e32 v30, v36, v30, vcc_lo
	v_fma_f32 v36, 0x3e800000, v37, 1.0
	v_cmp_class_f32_e64 vcc_lo, v33, 0x1f8
	v_xor3_b32 v34, v34, v35, v30
	v_add_f32_e32 v30, -1.0, v36
	v_cndmask_b32_e32 v33, 0x7fc00000, v34, vcc_lo
	v_frexp_mant_f32_e64 v34, |v30|
	v_cmp_class_f32_e64 s13, v30, 0x204
	v_frexp_mant_f32_e64 v35, |v33|
	v_cmp_gt_f32_e32 vcc_lo, 0x3f2aaaab, v34
	v_cmp_gt_f32_e64 s0, 0x3f2aaaab, v35
	v_cndmask_b32_e64 v36, 1.0, 2.0, vcc_lo
	v_cndmask_b32_e64 v37, 1.0, 2.0, s0
	v_mul_f32_e32 v34, v34, v36
	v_mul_f32_e32 v35, v35, v37
	v_add_f32_e32 v36, 1.0, v34
	v_add_f32_e32 v40, -1.0, v34
	v_add_f32_e32 v37, 1.0, v35
	v_rcp_f32_e32 v38, v36
	v_add_f32_e32 v41, -1.0, v35
	v_add_f32_e32 v44, -1.0, v36
	v_rcp_f32_e32 v39, v37
	v_add_f32_e32 v46, -1.0, v37
	v_sub_f32_e32 v34, v34, v44
	v_mul_f32_e32 v42, v40, v38
	v_sub_f32_e32 v35, v35, v46
	v_mul_f32_e32 v43, v41, v39
	v_mul_f32_e32 v45, v36, v42
	;; [unrolled: 1-line block ×3, first 2 shown]
	v_fma_f32 v36, v42, v36, -v45
	v_fma_f32 v37, v43, v37, -v47
	v_fmac_f32_e32 v36, v42, v34
	v_fmac_f32_e32 v37, v43, v35
	v_add_f32_e32 v34, v45, v36
	v_add_f32_e32 v35, v47, v37
	v_sub_f32_e32 v44, v40, v34
	v_sub_f32_e32 v45, v34, v45
	;; [unrolled: 1-line block ×10, first 2 shown]
	v_add_f32_e32 v34, v36, v34
	v_add_f32_e32 v35, v37, v35
	;; [unrolled: 1-line block ×4, first 2 shown]
	v_mul_f32_e32 v34, v38, v34
	v_mul_f32_e32 v35, v39, v35
	v_add_f32_e32 v38, v42, v34
	v_add_f32_e32 v39, v43, v35
	v_sub_f32_e32 v36, v38, v42
	v_mul_f32_e32 v40, v38, v38
	v_sub_f32_e32 v37, v39, v43
	v_sub_f32_e32 v41, v34, v36
	v_mul_f32_e32 v36, v39, v39
	v_sub_f32_e32 v42, v35, v37
	v_fma_f32 v37, v38, v38, -v40
	v_add_f32_e32 v34, v41, v41
	v_fma_f32 v43, v39, v39, -v36
	v_add_f32_e32 v35, v42, v42
	v_fmac_f32_e32 v37, v38, v34
	v_fmac_f32_e32 v43, v39, v35
	v_cvt_f64_f32_e64 v[34:35], |v30|
	v_add_f32_e32 v44, v40, v37
	v_add_f32_e32 v45, v36, v43
	v_fmaak_f32 v46, s11, v44, 0x3e91f4c4
	v_sub_f32_e32 v40, v44, v40
	v_mul_f32_e32 v52, v38, v44
	v_fmaak_f32 v47, s11, v45, 0x3e91f4c4
	v_sub_f32_e32 v36, v45, v36
	v_fmaak_f32 v46, v44, v46, 0x3ecccdef
	v_sub_f32_e32 v40, v37, v40
	;; [unrolled: 2-line block ×3, first 2 shown]
	v_mul_f32_e32 v48, v44, v46
	v_cvt_f64_f32_e64 v[36:37], |v33|
	v_mul_f32_e32 v49, v45, v47
	v_fma_f32 v50, v44, v46, -v48
	v_frexp_exp_i32_f64_e32 v34, v[34:35]
	v_fma_f32 v51, v45, v47, -v49
	v_fmac_f32_e32 v50, v40, v46
	v_fma_f32 v46, v44, v38, -v52
	v_fmac_f32_e32 v51, v43, v47
	v_add_f32_e32 v47, v48, v50
	v_fmac_f32_e32 v46, v44, v41
	v_mul_f32_e32 v44, v39, v45
	v_add_f32_e32 v35, v49, v51
	v_ldexp_f32 v41, v41, 1
	v_sub_f32_e32 v48, v47, v48
	v_add_f32_e32 v53, 0x3f2aaaaa, v47
	v_fma_f32 v55, v45, v39, -v44
	v_sub_f32_e32 v49, v35, v49
	v_add_f32_e32 v54, 0x3f2aaaaa, v35
	v_sub_f32_e32 v48, v50, v48
	v_add_f32_e32 v50, 0xbf2aaaaa, v53
	v_fmac_f32_e32 v55, v45, v42
	v_sub_f32_e32 v49, v51, v49
	v_add_f32_e32 v51, 0xbf2aaaaa, v54
	v_add_f32_e32 v45, 0x31739010, v48
	v_sub_f32_e32 v47, v47, v50
	v_frexp_exp_i32_f64_e32 v36, v[36:37]
	v_add_f32_e32 v48, 0x31739010, v49
	v_sub_f32_e32 v35, v35, v51
	v_fmac_f32_e32 v55, v43, v39
	v_add_f32_e32 v37, v45, v47
	v_fmac_f32_e32 v46, v40, v38
	v_subrev_co_ci_u32_e64 v34, null, 0, v34, vcc_lo
	v_add_f32_e32 v35, v48, v35
	v_add_f32_e32 v43, v53, v37
	;; [unrolled: 1-line block ×4, first 2 shown]
	v_cvt_f32_i32_e32 v34, v34
	v_add_f32_e32 v45, v54, v35
	v_sub_f32_e32 v49, v53, v43
	v_sub_f32_e32 v44, v47, v44
	;; [unrolled: 1-line block ×3, first 2 shown]
	v_mul_f32_e32 v52, v40, v43
	v_sub_f32_e32 v50, v54, v45
	v_mul_f32_e32 v51, v47, v45
	v_add_f32_e32 v37, v37, v49
	v_sub_f32_e32 v44, v55, v44
	v_sub_f32_e32 v46, v46, v48
	v_add_f32_e32 v35, v35, v50
	v_fma_f32 v49, v47, v45, -v51
	v_fma_f32 v50, v40, v43, -v52
	v_ldexp_f32 v38, v38, 1
	v_mul_f32_e32 v53, 0x3f317218, v34
	v_ldexp_f32 v42, v42, 1
	v_fmac_f32_e32 v49, v47, v35
	v_fmac_f32_e32 v50, v40, v37
	v_subrev_co_ci_u32_e64 v35, null, 0, v36, s0
	v_ldexp_f32 v37, v39, 1
	v_fmac_f32_e32 v49, v44, v45
	v_fmac_f32_e32 v50, v46, v43
	v_cvt_f32_i32_e32 v35, v35
	v_fma_f32 v36, 0x3f317218, v34, -v53
	v_cmp_eq_f32_e32 vcc_lo, 1.0, v33
	v_add_f32_e32 v39, v51, v49
	v_add_f32_e32 v40, v52, v50
	v_mul_f32_e32 v43, 0x3f317218, v35
	v_fmac_f32_e32 v36, 0xb102e308, v34
	v_add_f32_e32 v44, v37, v39
	v_sub_f32_e32 v45, v39, v51
	v_add_f32_e32 v46, v38, v40
	v_sub_f32_e32 v47, v40, v52
	v_fma_f32 v48, 0x3f317218, v35, -v43
	v_sub_f32_e32 v37, v44, v37
	v_sub_f32_e32 v45, v49, v45
	v_sub_f32_e32 v38, v46, v38
	v_sub_f32_e32 v47, v50, v47
	v_fmac_f32_e32 v48, 0xb102e308, v35
	v_sub_f32_e32 v37, v39, v37
	v_add_f32_e32 v39, v42, v45
	v_sub_f32_e32 v38, v40, v38
	v_add_f32_e32 v40, v41, v47
	v_add_f32_e32 v34, v39, v37
	;; [unrolled: 1-line block ×6, first 2 shown]
	v_sub_f32_e32 v41, v37, v53
	v_add_f32_e32 v40, v46, v35
	v_add_f32_e32 v42, v38, v39
	v_sub_f32_e32 v36, v36, v41
	v_add_f32_e32 v45, v37, v40
	v_sub_f32_e32 v41, v38, v43
	v_sub_f32_e32 v46, v40, v46
	;; [unrolled: 1-line block ×13, first 2 shown]
	v_add_f32_e32 v43, v41, v34
	v_sub_f32_e32 v37, v37, v46
	v_add_f32_e32 v38, v39, v38
	v_add_f32_e32 v39, v36, v35
	;; [unrolled: 1-line block ×3, first 2 shown]
	v_sub_f32_e32 v40, v43, v41
	v_add_f32_e32 v38, v43, v38
	v_sub_f32_e32 v44, v39, v36
	v_add_f32_e32 v37, v39, v37
	v_sub_f32_e32 v43, v43, v40
	v_sub_f32_e32 v34, v34, v40
	v_add_f32_e32 v46, v42, v38
	v_sub_f32_e32 v39, v39, v44
	v_add_f32_e32 v47, v45, v37
	v_sub_f32_e32 v40, v41, v43
	v_sub_f32_e32 v35, v35, v44
	;; [unrolled: 1-line block ×5, first 2 shown]
	v_add_f32_e32 v34, v34, v40
	v_sub_f32_e32 v38, v38, v41
	v_add_f32_e32 v35, v35, v36
	v_sub_f32_e32 v36, v37, v39
	v_cndmask_b32_e64 v37, 2.0, 1.0, vcc_lo
	v_cmp_eq_f32_e32 vcc_lo, 1.0, v30
	v_add_f32_e32 v34, v34, v38
	v_add_f32_e32 v35, v35, v36
	v_trunc_f32_e32 v53, v37
	v_cndmask_b32_e64 v39, 2.0, 1.0, vcc_lo
	v_add_f32_e32 v36, v46, v34
	v_mul_f32_e32 v56, 0.5, v37
	v_add_f32_e32 v38, v47, v35
	v_cmp_eq_f32_e64 s1, v53, v37
	v_mul_f32_e32 v51, 0.5, v39
	v_sub_f32_e32 v40, v36, v46
	v_mul_f32_e32 v41, v37, v36
	v_sub_f32_e32 v42, v38, v47
	v_mul_f32_e32 v43, v39, v38
	v_trunc_f32_e32 v47, v39
	v_sub_f32_e32 v34, v34, v40
	v_fma_f32 v36, v37, v36, -v41
	v_sub_f32_e32 v35, v35, v42
	v_fma_f32 v38, v39, v38, -v43
	v_cmp_class_f32_e64 vcc_lo, v41, 0x204
	v_cmp_eq_f32_e64 s0, v47, v39
	v_fmac_f32_e32 v36, v37, v34
	v_trunc_f32_e32 v37, v56
	v_fmac_f32_e32 v38, v39, v35
	v_trunc_f32_e32 v57, v51
	v_add_f32_e32 v34, v41, v36
	v_cmp_neq_f32_e64 s2, v37, v56
	v_add_f32_e32 v35, v43, v38
	v_cndmask_b32_e32 v40, v34, v41, vcc_lo
	v_cmp_class_f32_e64 vcc_lo, v43, 0x204
	v_sub_f32_e32 v34, v34, v41
	s_and_b32 s2, s1, s2
	v_cmp_neq_f32_e64 s3, 0x7f800000, |v40|
	v_cndmask_b32_e32 v42, v35, v43, vcc_lo
	v_cmp_eq_f32_e32 vcc_lo, 0x42b17218, v40
	v_sub_f32_e32 v35, v35, v43
	v_sub_f32_e32 v34, v36, v34
	v_cndmask_b32_e64 v44, 0, 0x37000000, vcc_lo
	v_cmp_eq_f32_e32 vcc_lo, 0x42b17218, v42
	v_sub_f32_e32 v35, v38, v35
	v_cndmask_b32_e64 v34, 0, v34, s3
	v_cmp_neq_f32_e64 s3, 0x7f800000, |v42|
	v_sub_f32_e32 v46, v40, v44
	v_cndmask_b32_e64 v45, 0, 0x37000000, vcc_lo
	v_cmp_eq_f32_e32 vcc_lo, 0, v30
	v_add_f32_e32 v34, v44, v34
	v_cndmask_b32_e64 v35, 0, v35, s3
	v_mul_f32_e32 v49, 0x3fb8aa3b, v46
	v_sub_f32_e32 v48, v42, v45
	v_cmp_ngt_f32_e64 s3, 0xc2ce8ed0, v46
	v_cndmask_b32_e64 v50, 0x7f800000, 0, vcc_lo
	v_add_f32_e32 v35, v45, v35
	v_fma_f32 v39, 0x3fb8aa3b, v46, -v49
	v_mul_f32_e32 v52, 0x3fb8aa3b, v48
	v_rndne_f32_e32 v47, v49
	s_or_b32 vcc_lo, vcc_lo, s13
	v_fmac_f32_e32 v39, 0x32a5705f, v46
	v_fma_f32 v54, 0x3fb8aa3b, v48, -v52
	v_rndne_f32_e32 v55, v52
	v_sub_f32_e32 v49, v49, v47
	v_cvt_i32_f32_e32 v36, v47
	v_fmac_f32_e32 v54, 0x32a5705f, v48
	v_sub_f32_e32 v52, v52, v55
	v_add_f32_e32 v39, v49, v39
	v_cvt_i32_f32_e32 v38, v55
	v_add_f32_e32 v49, v52, v54
	v_exp_f32_e32 v39, v39
	v_exp_f32_e32 v37, v49
	v_ldexp_f32 v36, v39, v36
	v_ldexp_f32 v37, v37, v38
	v_cndmask_b32_e64 v36, 0, v36, s3
	v_cmp_ngt_f32_e64 s3, 0xc2ce8ed0, v48
	v_cndmask_b32_e64 v38, 1.0, v33, s2
	v_cndmask_b32_e64 v37, 0, v37, s3
	v_cmp_nlt_f32_e64 s3, 0x42b17218, v46
	v_cndmask_b32_e64 v36, 0x7f800000, v36, s3
	v_cmp_nlt_f32_e64 s3, 0x42b17218, v48
	v_fma_f32 v34, v36, v34, v36
	v_cndmask_b32_e64 v37, 0x7f800000, v37, s3
	v_cmp_class_f32_e64 s4, v36, 0x204
	v_cmp_neq_f32_e64 s3, v57, v51
	v_fma_f32 v35, v37, v35, v37
	v_cndmask_b32_e64 v34, v34, v36, s4
	v_cmp_class_f32_e64 s4, v37, 0x204
	s_and_b32 s3, s0, s3
	v_cndmask_b32_e64 v36, 1.0, v30, s3
	v_bfi_b32 v34, 0x7fffffff, v34, v38
	v_cndmask_b32_e64 v35, v35, v37, s4
	v_cmp_eq_f32_e64 s4, 0, v33
	v_cndmask_b32_e64 v38, 0, v33, s2
	v_cndmask_b32_e64 v39, 0, v30, s3
	v_cmp_class_f32_e64 s2, v33, 0x204
	v_bfi_b32 v35, 0x7fffffff, v35, v36
	v_cndmask_b32_e64 v37, 0x7f800000, 0, s4
	v_cndmask_b32_e64 v36, 0x7fc00000, v34, s1
	v_bfi_b32 v37, 0x7fffffff, v37, v38
	v_cndmask_b32_e64 v38, 0x7fc00000, v35, s0
	v_cmp_gt_f32_e64 s0, 0, v33
	v_cndmask_b32_e64 v34, v34, v36, s0
	v_cmp_gt_f32_e64 s0, 0, v30
	v_bfi_b32 v36, 0x7fffffff, v50, v39
	v_cndmask_b32_e64 v35, v35, v38, s0
	s_or_b32 s0, s4, s2
	s_add_u32 s8, s8, 1
	v_cndmask_b32_e64 v34, v34, v37, s0
	s_addc_u32 s9, s9, 0
	v_cndmask_b32_e32 v35, v35, v36, vcc_lo
	v_cmp_o_f32_e32 vcc_lo, v30, v30
	s_cmp_lg_u32 s8, 30
	v_fma_f32 v34, 0x41200000, v34, 1.0
	v_cndmask_b32_e32 v30, 0x7fc00000, v35, vcc_lo
	v_cmp_o_f32_e32 vcc_lo, v33, v33
	v_cndmask_b32_e32 v33, 0x7fc00000, v34, vcc_lo
	v_fmac_f32_e32 v32, v30, v33
	s_cbranch_scc0 .LBB1_33
.LBB1_29:                               ; =>This Inner Loop Header: Depth=1
	s_mov_b32 m0, s8
                                        ; implicit-def: $vgpr35
	s_mov_b32 s1, exec_lo
	v_movrels_b32_e32 v30, v0
	v_add_f32_e32 v30, -1.0, v30
	v_fma_f32 v30, 0x3e800000, v30, 1.0
	v_mul_f32_e32 v33, 0x40490e56, v30
                                        ; implicit-def: $vgpr30
	v_and_b32_e32 v34, 0x7fffffff, v33
	v_cmpx_ngt_f32_e64 0x48000000, |v33|
	s_xor_b32 s2, exec_lo, s1
	s_cbranch_execz .LBB1_31
; %bb.30:                               ;   in Loop: Header=BB1_29 Depth=1
	v_and_or_b32 v42, v34, s12, 0x800000
	v_lshrrev_b32_e32 v40, 23, v34
	v_mad_u64_u32 v[35:36], null, 0xfe5163ab, v42, 0
	v_add_nc_u32_e32 v41, 0xffffff88, v40
	v_cmp_lt_u32_e32 vcc_lo, 63, v41
	v_mov_b32_e32 v30, v36
	v_cndmask_b32_e64 v43, 0, 0xffffffc0, vcc_lo
	v_mad_u64_u32 v[36:37], null, 0x3c439041, v42, v[30:31]
	v_add_nc_u32_e32 v43, v43, v41
	v_mov_b32_e32 v30, v37
	v_cmp_lt_u32_e64 s0, 31, v43
	v_mad_u64_u32 v[37:38], null, 0xdb629599, v42, v[30:31]
	v_cndmask_b32_e64 v44, 0, 0xffffffe0, s0
	v_add_nc_u32_e32 v43, v44, v43
	v_mov_b32_e32 v30, v38
	v_cndmask_b32_e32 v35, v37, v35, vcc_lo
	v_cmp_lt_u32_e64 s1, 31, v43
	v_mad_u64_u32 v[38:39], null, 0xf534ddc0, v42, v[30:31]
	v_mov_b32_e32 v30, v39
	v_cndmask_b32_e32 v36, v38, v36, vcc_lo
	v_mad_u64_u32 v[39:40], null, 0xfc2757d1, v42, v[30:31]
	v_cndmask_b32_e64 v35, v36, v35, s0
	v_mov_b32_e32 v30, v40
	v_mad_u64_u32 v[40:41], null, 0x4e441529, v42, v[30:31]
	v_mov_b32_e32 v30, v41
	v_cndmask_b32_e32 v44, v40, v38, vcc_lo
	v_mad_u64_u32 v[41:42], null, 0xa2f9836e, v42, v[30:31]
	v_cndmask_b32_e64 v30, 0, 0xffffffe0, s1
	v_add_nc_u32_e32 v30, v30, v43
	v_cndmask_b32_e32 v41, v41, v39, vcc_lo
	v_cndmask_b32_e32 v40, v42, v40, vcc_lo
	;; [unrolled: 1-line block ×3, first 2 shown]
	v_sub_nc_u32_e32 v42, 32, v30
	v_cndmask_b32_e64 v38, v41, v44, s0
	v_cndmask_b32_e64 v40, v40, v41, s0
	;; [unrolled: 1-line block ×4, first 2 shown]
	v_cmp_eq_u32_e32 vcc_lo, 0, v30
	v_cndmask_b32_e64 v40, v40, v38, s1
	v_cndmask_b32_e64 v38, v38, v41, s1
	;; [unrolled: 1-line block ×4, first 2 shown]
	v_alignbit_b32 v43, v40, v38, v42
	v_alignbit_b32 v37, v38, v41, v42
	v_cndmask_b32_e32 v30, v43, v40, vcc_lo
	v_cndmask_b32_e32 v36, v37, v38, vcc_lo
	v_alignbit_b32 v40, v41, v35, v42
	v_bfe_u32 v37, v30, 29, 1
	v_alignbit_b32 v38, v30, v36, 30
	v_cndmask_b32_e32 v40, v40, v41, vcc_lo
	v_sub_nc_u32_e32 v39, 0, v37
	v_alignbit_b32 v36, v36, v40, 30
	v_alignbit_b32 v35, v40, v35, 30
	v_xor_b32_e32 v38, v38, v39
	v_xor_b32_e32 v36, v36, v39
	;; [unrolled: 1-line block ×3, first 2 shown]
	v_lshrrev_b32_e32 v39, 29, v30
	v_ffbh_u32_e32 v41, v38
	v_min_u32_e32 v41, 32, v41
	v_sub_nc_u32_e32 v40, 31, v41
	v_lshlrev_b32_e32 v42, 23, v41
	v_alignbit_b32 v38, v38, v36, v40
	v_alignbit_b32 v35, v36, v35, v40
	v_lshlrev_b32_e32 v36, 31, v39
	v_alignbit_b32 v39, v38, v35, 9
	v_or_b32_e32 v40, 0.5, v36
	v_lshrrev_b32_e32 v38, 9, v38
	v_or_b32_e32 v36, 0x33000000, v36
	v_ffbh_u32_e32 v43, v39
	v_sub_nc_u32_e32 v40, v40, v42
	v_min_u32_e32 v42, 32, v43
	v_or_b32_e32 v38, v38, v40
	v_not_b32_e32 v40, v42
	v_mul_f32_e32 v43, 0x3fc90fda, v38
	v_add_lshl_u32 v41, v42, v41, 23
	v_alignbit_b32 v35, v39, v35, v40
	v_fma_f32 v39, 0x3fc90fda, v38, -v43
	v_sub_nc_u32_e32 v36, v36, v41
	v_lshrrev_b32_e32 v35, 9, v35
	v_fmac_f32_e32 v39, 0x33a22168, v38
	v_or_b32_e32 v35, v36, v35
	v_fmac_f32_e32 v39, 0x3fc90fda, v35
	v_lshrrev_b32_e32 v35, 30, v30
	v_add_f32_e32 v30, v43, v39
	v_add_nc_u32_e32 v35, v37, v35
.LBB1_31:                               ;   in Loop: Header=BB1_29 Depth=1
	s_andn2_saveexec_b32 s0, s2
	s_cbranch_execz .LBB1_28
; %bb.32:                               ;   in Loop: Header=BB1_29 Depth=1
	v_mul_f32_e64 v30, 0x3f22f983, |v33|
	v_rndne_f32_e32 v35, v30
	v_fma_f32 v30, 0xbfc90fda, v35, |v33|
	v_fmac_f32_e32 v30, 0xb3a22168, v35
	v_fmac_f32_e32 v30, 0xa7c234c4, v35
	v_cvt_i32_f32_e32 v35, v35
	s_branch .LBB1_28
.LBB1_33:
	v_cmp_gt_f32_e32 vcc_lo, 0x43020000, v32
	s_and_b32 exec_lo, exec_lo, vcc_lo
	s_cbranch_execz .LBB1_213
; %bb.34:
	v_bfrev_b32_e32 v32, 1
	s_mov_b32 s0, exec_lo
.LBB1_35:                               ; =>This Inner Loop Header: Depth=1
	s_ff1_i32_b32 s1, s0
	v_readlane_b32 s2, v0, s1
	s_lshl_b32 s1, 1, s1
	s_andn2_b32 s0, s0, s1
	s_cmp_lg_u32 s0, 0
	v_add_f32_e32 v32, s2, v32
	s_cbranch_scc1 .LBB1_35
; %bb.36:
	v_mbcnt_lo_u32_b32 v0, exec_lo, 0
	s_mov_b32 s1, 0
	s_mov_b32 s0, exec_lo
	v_cmpx_eq_u32_e32 0, v0
	s_xor_b32 s0, exec_lo, s0
	s_cbranch_execz .LBB1_40
; %bb.37:
	s_waitcnt lgkmcnt(0)
	s_load_dword s2, s[6:7], 0x0
	v_mov_b32_e32 v0, 0
	s_waitcnt lgkmcnt(0)
	v_mov_b32_e32 v31, s2
.LBB1_38:                               ; =>This Inner Loop Header: Depth=1
	v_add_f32_e32 v30, v31, v32
	global_atomic_cmpswap v30, v0, v[30:31], s[6:7] glc
	s_waitcnt vmcnt(0)
	v_cmp_eq_u32_e32 vcc_lo, v30, v31
	v_mov_b32_e32 v31, v30
	s_or_b32 s1, vcc_lo, s1
	s_andn2_b32 exec_lo, exec_lo, s1
	s_cbranch_execnz .LBB1_38
; %bb.39:
	s_or_b32 exec_lo, exec_lo, s1
.LBB1_40:
	s_or_b32 exec_lo, exec_lo, s0
	v_bfrev_b32_e32 v30, 1
	s_mov_b32 s0, exec_lo
.LBB1_41:                               ; =>This Inner Loop Header: Depth=1
	s_ff1_i32_b32 s1, s0
	v_readlane_b32 s2, v1, s1
	s_lshl_b32 s1, 1, s1
	s_andn2_b32 s0, s0, s1
	s_cmp_lg_u32 s0, 0
	v_add_f32_e32 v30, s2, v30
	s_cbranch_scc1 .LBB1_41
; %bb.42:
	v_mbcnt_lo_u32_b32 v0, exec_lo, 0
	s_mov_b32 s1, 0
	s_mov_b32 s0, exec_lo
	v_cmpx_eq_u32_e32 0, v0
	s_xor_b32 s0, exec_lo, s0
	s_cbranch_execz .LBB1_46
; %bb.43:
	s_waitcnt lgkmcnt(0)
	s_load_dword s2, s[6:7], 0x4
	v_mov_b32_e32 v31, 0
	s_waitcnt lgkmcnt(0)
	v_mov_b32_e32 v1, s2
.LBB1_44:                               ; =>This Inner Loop Header: Depth=1
	v_add_f32_e32 v0, v1, v30
	global_atomic_cmpswap v0, v31, v[0:1], s[6:7] offset:4 glc
	s_waitcnt vmcnt(0)
	v_cmp_eq_u32_e32 vcc_lo, v0, v1
	v_mov_b32_e32 v1, v0
	s_or_b32 s1, vcc_lo, s1
	s_andn2_b32 exec_lo, exec_lo, s1
	s_cbranch_execnz .LBB1_44
; %bb.45:
	s_or_b32 exec_lo, exec_lo, s1
.LBB1_46:
	s_or_b32 exec_lo, exec_lo, s0
	v_bfrev_b32_e32 v30, 1
	s_mov_b32 s0, exec_lo
.LBB1_47:                               ; =>This Inner Loop Header: Depth=1
	s_ff1_i32_b32 s1, s0
	v_readlane_b32 s2, v2, s1
	s_lshl_b32 s1, 1, s1
	s_andn2_b32 s0, s0, s1
	s_cmp_lg_u32 s0, 0
	v_add_f32_e32 v30, s2, v30
	s_cbranch_scc1 .LBB1_47
; %bb.48:
	v_mbcnt_lo_u32_b32 v0, exec_lo, 0
	s_mov_b32 s1, 0
	s_mov_b32 s0, exec_lo
	v_cmpx_eq_u32_e32 0, v0
	s_xor_b32 s0, exec_lo, s0
	s_cbranch_execz .LBB1_52
; %bb.49:
	s_waitcnt lgkmcnt(0)
	s_load_dword s2, s[6:7], 0x8
	v_mov_b32_e32 v2, 0
	s_waitcnt lgkmcnt(0)
	v_mov_b32_e32 v1, s2
.LBB1_50:                               ; =>This Inner Loop Header: Depth=1
	v_add_f32_e32 v0, v1, v30
	global_atomic_cmpswap v0, v2, v[0:1], s[6:7] offset:8 glc
	s_waitcnt vmcnt(0)
	v_cmp_eq_u32_e32 vcc_lo, v0, v1
	v_mov_b32_e32 v1, v0
	s_or_b32 s1, vcc_lo, s1
	s_andn2_b32 exec_lo, exec_lo, s1
	s_cbranch_execnz .LBB1_50
; %bb.51:
	s_or_b32 exec_lo, exec_lo, s1
.LBB1_52:
	;; [unrolled: 36-line block ×10, first 2 shown]
	s_or_b32 exec_lo, exec_lo, s0
	v_bfrev_b32_e32 v2, 1
	s_mov_b32 s0, exec_lo
.LBB1_101:                              ; =>This Inner Loop Header: Depth=1
	s_ff1_i32_b32 s1, s0
	v_readlane_b32 s2, v11, s1
	s_lshl_b32 s1, 1, s1
	s_andn2_b32 s0, s0, s1
	s_cmp_lg_u32 s0, 0
	v_add_f32_e32 v2, s2, v2
	s_cbranch_scc1 .LBB1_101
; %bb.102:
	v_mbcnt_lo_u32_b32 v0, exec_lo, 0
	s_mov_b32 s1, 0
	s_mov_b32 s0, exec_lo
	v_cmpx_eq_u32_e32 0, v0
	s_xor_b32 s0, exec_lo, s0
	s_cbranch_execz .LBB1_106
; %bb.103:
	s_waitcnt lgkmcnt(0)
	s_load_dword s2, s[6:7], 0x2c
	v_mov_b32_e32 v3, 0
	s_waitcnt lgkmcnt(0)
	v_mov_b32_e32 v1, s2
.LBB1_104:                              ; =>This Inner Loop Header: Depth=1
	v_add_f32_e32 v0, v1, v2
	global_atomic_cmpswap v0, v3, v[0:1], s[6:7] offset:44 glc
	s_waitcnt vmcnt(0)
	v_cmp_eq_u32_e32 vcc_lo, v0, v1
	v_mov_b32_e32 v1, v0
	s_or_b32 s1, vcc_lo, s1
	s_andn2_b32 exec_lo, exec_lo, s1
	s_cbranch_execnz .LBB1_104
; %bb.105:
	s_or_b32 exec_lo, exec_lo, s1
.LBB1_106:
	s_or_b32 exec_lo, exec_lo, s0
	v_bfrev_b32_e32 v2, 1
	s_mov_b32 s0, exec_lo
.LBB1_107:                              ; =>This Inner Loop Header: Depth=1
	s_ff1_i32_b32 s1, s0
	v_readlane_b32 s2, v12, s1
	s_lshl_b32 s1, 1, s1
	s_andn2_b32 s0, s0, s1
	s_cmp_lg_u32 s0, 0
	v_add_f32_e32 v2, s2, v2
	s_cbranch_scc1 .LBB1_107
; %bb.108:
	v_mbcnt_lo_u32_b32 v0, exec_lo, 0
	s_mov_b32 s1, 0
	s_mov_b32 s0, exec_lo
	v_cmpx_eq_u32_e32 0, v0
	s_xor_b32 s0, exec_lo, s0
	s_cbranch_execz .LBB1_112
; %bb.109:
	s_waitcnt lgkmcnt(0)
	s_load_dword s2, s[6:7], 0x30
	v_mov_b32_e32 v3, 0
	s_waitcnt lgkmcnt(0)
	v_mov_b32_e32 v1, s2
.LBB1_110:                              ; =>This Inner Loop Header: Depth=1
	v_add_f32_e32 v0, v1, v2
	global_atomic_cmpswap v0, v3, v[0:1], s[6:7] offset:48 glc
	s_waitcnt vmcnt(0)
	v_cmp_eq_u32_e32 vcc_lo, v0, v1
	v_mov_b32_e32 v1, v0
	s_or_b32 s1, vcc_lo, s1
	s_andn2_b32 exec_lo, exec_lo, s1
	s_cbranch_execnz .LBB1_110
; %bb.111:
	s_or_b32 exec_lo, exec_lo, s1
.LBB1_112:
	;; [unrolled: 36-line block ×18, first 2 shown]
	s_or_b32 exec_lo, exec_lo, s0
	v_bfrev_b32_e32 v2, 1
	s_mov_b32 s0, exec_lo
.LBB1_209:                              ; =>This Inner Loop Header: Depth=1
	s_ff1_i32_b32 s1, s0
	v_readlane_b32 s2, v29, s1
	s_lshl_b32 s1, 1, s1
	s_andn2_b32 s0, s0, s1
	s_cmp_lg_u32 s0, 0
	v_add_f32_e32 v2, s2, v2
	s_cbranch_scc1 .LBB1_209
; %bb.210:
	v_mbcnt_lo_u32_b32 v0, exec_lo, 0
	s_mov_b32 s0, 0
	s_mov_b32 s1, exec_lo
	v_cmpx_eq_u32_e32 0, v0
	s_xor_b32 s1, exec_lo, s1
	s_cbranch_execz .LBB1_213
; %bb.211:
	s_waitcnt lgkmcnt(0)
	s_load_dword s1, s[6:7], 0x74
	v_mov_b32_e32 v3, 0
	s_waitcnt lgkmcnt(0)
	v_mov_b32_e32 v1, s1
.LBB1_212:                              ; =>This Inner Loop Header: Depth=1
	v_add_f32_e32 v0, v1, v2
	global_atomic_cmpswap v0, v3, v[0:1], s[6:7] offset:116 glc
	s_waitcnt vmcnt(0)
	v_cmp_eq_u32_e32 vcc_lo, v0, v1
	v_mov_b32_e32 v1, v0
	s_or_b32 s0, vcc_lo, s0
	s_andn2_b32 exec_lo, exec_lo, s0
	s_cbranch_execnz .LBB1_212
.LBB1_213:
	s_endpgm
	.section	.rodata,"a",@progbits
	.p2align	6, 0x0
	.amdhsa_kernel _Z17kernelUpdatePBestPKfPfS1_i
		.amdhsa_group_segment_fixed_size 0
		.amdhsa_private_segment_fixed_size 0
		.amdhsa_kernarg_size 288
		.amdhsa_user_sgpr_count 6
		.amdhsa_user_sgpr_private_segment_buffer 1
		.amdhsa_user_sgpr_dispatch_ptr 0
		.amdhsa_user_sgpr_queue_ptr 0
		.amdhsa_user_sgpr_kernarg_segment_ptr 1
		.amdhsa_user_sgpr_dispatch_id 0
		.amdhsa_user_sgpr_flat_scratch_init 0
		.amdhsa_user_sgpr_private_segment_size 0
		.amdhsa_wavefront_size32 1
		.amdhsa_uses_dynamic_stack 0
		.amdhsa_system_sgpr_private_segment_wavefront_offset 0
		.amdhsa_system_sgpr_workgroup_id_x 1
		.amdhsa_system_sgpr_workgroup_id_y 0
		.amdhsa_system_sgpr_workgroup_id_z 0
		.amdhsa_system_sgpr_workgroup_info 0
		.amdhsa_system_vgpr_workitem_id 0
		.amdhsa_next_free_vgpr 93
		.amdhsa_next_free_sgpr 16
		.amdhsa_reserve_vcc 1
		.amdhsa_reserve_flat_scratch 0
		.amdhsa_float_round_mode_32 0
		.amdhsa_float_round_mode_16_64 0
		.amdhsa_float_denorm_mode_32 3
		.amdhsa_float_denorm_mode_16_64 3
		.amdhsa_dx10_clamp 1
		.amdhsa_ieee_mode 1
		.amdhsa_fp16_overflow 0
		.amdhsa_workgroup_processor_mode 1
		.amdhsa_memory_ordered 1
		.amdhsa_forward_progress 1
		.amdhsa_shared_vgpr_count 0
		.amdhsa_exception_fp_ieee_invalid_op 0
		.amdhsa_exception_fp_denorm_src 0
		.amdhsa_exception_fp_ieee_div_zero 0
		.amdhsa_exception_fp_ieee_overflow 0
		.amdhsa_exception_fp_ieee_underflow 0
		.amdhsa_exception_fp_ieee_inexact 0
		.amdhsa_exception_int_div_zero 0
	.end_amdhsa_kernel
	.text
.Lfunc_end1:
	.size	_Z17kernelUpdatePBestPKfPfS1_i, .Lfunc_end1-_Z17kernelUpdatePBestPKfPfS1_i
                                        ; -- End function
	.set _Z17kernelUpdatePBestPKfPfS1_i.num_vgpr, 93
	.set _Z17kernelUpdatePBestPKfPfS1_i.num_agpr, 0
	.set _Z17kernelUpdatePBestPKfPfS1_i.numbered_sgpr, 16
	.set _Z17kernelUpdatePBestPKfPfS1_i.num_named_barrier, 0
	.set _Z17kernelUpdatePBestPKfPfS1_i.private_seg_size, 0
	.set _Z17kernelUpdatePBestPKfPfS1_i.uses_vcc, 1
	.set _Z17kernelUpdatePBestPKfPfS1_i.uses_flat_scratch, 0
	.set _Z17kernelUpdatePBestPKfPfS1_i.has_dyn_sized_stack, 0
	.set _Z17kernelUpdatePBestPKfPfS1_i.has_recursion, 0
	.set _Z17kernelUpdatePBestPKfPfS1_i.has_indirect_call, 0
	.section	.AMDGPU.csdata,"",@progbits
; Kernel info:
; codeLenInByte = 19548
; TotalNumSgprs: 18
; NumVgprs: 93
; ScratchSize: 0
; MemoryBound: 1
; FloatMode: 240
; IeeeMode: 1
; LDSByteSize: 0 bytes/workgroup (compile time only)
; SGPRBlocks: 0
; VGPRBlocks: 11
; NumSGPRsForWavesPerEU: 18
; NumVGPRsForWavesPerEU: 93
; Occupancy: 10
; WaveLimiterHint : 0
; COMPUTE_PGM_RSRC2:SCRATCH_EN: 0
; COMPUTE_PGM_RSRC2:USER_SGPR: 6
; COMPUTE_PGM_RSRC2:TRAP_HANDLER: 0
; COMPUTE_PGM_RSRC2:TGID_X_EN: 1
; COMPUTE_PGM_RSRC2:TGID_Y_EN: 0
; COMPUTE_PGM_RSRC2:TGID_Z_EN: 0
; COMPUTE_PGM_RSRC2:TIDIG_COMP_CNT: 0
	.text
	.p2alignl 6, 3214868480
	.fill 48, 4, 3214868480
	.section	.AMDGPU.gpr_maximums,"",@progbits
	.set amdgpu.max_num_vgpr, 0
	.set amdgpu.max_num_agpr, 0
	.set amdgpu.max_num_sgpr, 0
	.text
	.type	__hip_cuid_d1811b7822909bac,@object ; @__hip_cuid_d1811b7822909bac
	.section	.bss,"aw",@nobits
	.globl	__hip_cuid_d1811b7822909bac
__hip_cuid_d1811b7822909bac:
	.byte	0                               ; 0x0
	.size	__hip_cuid_d1811b7822909bac, 1

	.ident	"AMD clang version 22.0.0git (https://github.com/RadeonOpenCompute/llvm-project roc-7.2.4 26084 f58b06dce1f9c15707c5f808fd002e18c2accf7e)"
	.section	".note.GNU-stack","",@progbits
	.addrsig
	.addrsig_sym __hip_cuid_d1811b7822909bac
	.amdgpu_metadata
---
amdhsa.kernels:
  - .args:
      - .address_space:  global
        .offset:         0
        .size:           8
        .value_kind:     global_buffer
      - .address_space:  global
        .offset:         8
        .size:           8
        .value_kind:     global_buffer
      - .actual_access:  read_only
        .address_space:  global
        .offset:         16
        .size:           8
        .value_kind:     global_buffer
      - .actual_access:  read_only
        .address_space:  global
        .offset:         24
        .size:           8
        .value_kind:     global_buffer
      - .offset:         32
        .size:           4
        .value_kind:     by_value
      - .offset:         36
        .size:           4
        .value_kind:     by_value
      - .offset:         40
        .size:           4
        .value_kind:     by_value
      - .offset:         48
        .size:           4
        .value_kind:     hidden_block_count_x
      - .offset:         52
        .size:           4
        .value_kind:     hidden_block_count_y
      - .offset:         56
        .size:           4
        .value_kind:     hidden_block_count_z
      - .offset:         60
        .size:           2
        .value_kind:     hidden_group_size_x
      - .offset:         62
        .size:           2
        .value_kind:     hidden_group_size_y
      - .offset:         64
        .size:           2
        .value_kind:     hidden_group_size_z
      - .offset:         66
        .size:           2
        .value_kind:     hidden_remainder_x
      - .offset:         68
        .size:           2
        .value_kind:     hidden_remainder_y
      - .offset:         70
        .size:           2
        .value_kind:     hidden_remainder_z
      - .offset:         88
        .size:           8
        .value_kind:     hidden_global_offset_x
      - .offset:         96
        .size:           8
        .value_kind:     hidden_global_offset_y
      - .offset:         104
        .size:           8
        .value_kind:     hidden_global_offset_z
      - .offset:         112
        .size:           2
        .value_kind:     hidden_grid_dims
    .group_segment_fixed_size: 0
    .kernarg_segment_align: 8
    .kernarg_segment_size: 304
    .language:       OpenCL C
    .language_version:
      - 2
      - 0
    .max_flat_workgroup_size: 1024
    .name:           _Z20kernelUpdateParticlePfS_PKfS1_iff
    .private_segment_fixed_size: 0
    .sgpr_count:     14
    .sgpr_spill_count: 0
    .symbol:         _Z20kernelUpdateParticlePfS_PKfS1_iff.kd
    .uniform_work_group_size: 1
    .uses_dynamic_stack: false
    .vgpr_count:     11
    .vgpr_spill_count: 0
    .wavefront_size: 32
    .workgroup_processor_mode: 1
  - .args:
      - .actual_access:  read_only
        .address_space:  global
        .offset:         0
        .size:           8
        .value_kind:     global_buffer
      - .address_space:  global
        .offset:         8
        .size:           8
        .value_kind:     global_buffer
      - .address_space:  global
        .offset:         16
        .size:           8
        .value_kind:     global_buffer
      - .offset:         24
        .size:           4
        .value_kind:     by_value
      - .offset:         32
        .size:           4
        .value_kind:     hidden_block_count_x
      - .offset:         36
        .size:           4
        .value_kind:     hidden_block_count_y
      - .offset:         40
        .size:           4
        .value_kind:     hidden_block_count_z
      - .offset:         44
        .size:           2
        .value_kind:     hidden_group_size_x
      - .offset:         46
        .size:           2
        .value_kind:     hidden_group_size_y
      - .offset:         48
        .size:           2
        .value_kind:     hidden_group_size_z
      - .offset:         50
        .size:           2
        .value_kind:     hidden_remainder_x
      - .offset:         52
        .size:           2
        .value_kind:     hidden_remainder_y
      - .offset:         54
        .size:           2
        .value_kind:     hidden_remainder_z
      - .offset:         72
        .size:           8
        .value_kind:     hidden_global_offset_x
      - .offset:         80
        .size:           8
        .value_kind:     hidden_global_offset_y
      - .offset:         88
        .size:           8
        .value_kind:     hidden_global_offset_z
      - .offset:         96
        .size:           2
        .value_kind:     hidden_grid_dims
    .group_segment_fixed_size: 0
    .kernarg_segment_align: 8
    .kernarg_segment_size: 288
    .language:       OpenCL C
    .language_version:
      - 2
      - 0
    .max_flat_workgroup_size: 1024
    .name:           _Z17kernelUpdatePBestPKfPfS1_i
    .private_segment_fixed_size: 0
    .sgpr_count:     18
    .sgpr_spill_count: 0
    .symbol:         _Z17kernelUpdatePBestPKfPfS1_i.kd
    .uniform_work_group_size: 1
    .uses_dynamic_stack: false
    .vgpr_count:     93
    .vgpr_spill_count: 0
    .wavefront_size: 32
    .workgroup_processor_mode: 1
amdhsa.target:   amdgcn-amd-amdhsa--gfx1030
amdhsa.version:
  - 1
  - 2
...

	.end_amdgpu_metadata
